;; amdgpu-corpus repo=ROCm/rocFFT kind=compiled arch=gfx950 opt=O3
	.text
	.amdgcn_target "amdgcn-amd-amdhsa--gfx950"
	.amdhsa_code_object_version 6
	.protected	bluestein_single_fwd_len1859_dim1_dp_op_CI_CI ; -- Begin function bluestein_single_fwd_len1859_dim1_dp_op_CI_CI
	.globl	bluestein_single_fwd_len1859_dim1_dp_op_CI_CI
	.p2align	8
	.type	bluestein_single_fwd_len1859_dim1_dp_op_CI_CI,@function
bluestein_single_fwd_len1859_dim1_dp_op_CI_CI: ; @bluestein_single_fwd_len1859_dim1_dp_op_CI_CI
; %bb.0:
	s_load_dwordx4 s[8:11], s[0:1], 0x28
	v_mul_u32_u24_e32 v1, 0x184, v0
	v_add_u32_sdwa v2, s2, v1 dst_sel:DWORD dst_unused:UNUSED_PAD src0_sel:DWORD src1_sel:WORD_1
	v_mov_b32_e32 v3, 0
	v_accvgpr_write_b32 a0, v2
	s_waitcnt lgkmcnt(0)
	v_cmp_gt_u64_e32 vcc, s[8:9], v[2:3]
	s_and_saveexec_b64 s[2:3], vcc
	s_cbranch_execz .LBB0_23
; %bb.1:
	s_load_dwordx2 s[12:13], s[0:1], 0x0
	s_load_dwordx2 s[8:9], s[0:1], 0x38
	s_movk_i32 s2, 0xa9
	v_mul_lo_u16_sdwa v1, v1, s2 dst_sel:DWORD dst_unused:UNUSED_PAD src0_sel:WORD_1 src1_sel:DWORD
	v_sub_u16_e32 v169, v0, v1
	s_movk_i32 s2, 0x8f
	v_cmp_gt_u16_e64 s[2:3], s2, v169
	v_lshlrev_b32_e32 v168, 4, v169
	s_and_saveexec_b64 s[14:15], s[2:3]
	s_cbranch_execz .LBB0_3
; %bb.2:
	s_load_dwordx2 s[4:5], s[0:1], 0x18
	v_accvgpr_read_b32 v10, a0
	v_mov_b32_e32 v0, s10
	v_mov_b32_e32 v1, s11
	;; [unrolled: 1-line block ×3, first 2 shown]
	s_waitcnt lgkmcnt(0)
	s_load_dwordx4 s[4:7], s[4:5], 0x0
	s_waitcnt lgkmcnt(0)
	v_mad_u64_u32 v[2:3], s[10:11], s6, v10, 0
	v_mad_u64_u32 v[4:5], s[10:11], s4, v169, 0
	v_mov_b32_e32 v6, v3
	v_mov_b32_e32 v8, v5
	v_mad_u64_u32 v[6:7], s[6:7], s7, v10, v[6:7]
	v_mov_b32_e32 v3, v6
	v_mad_u64_u32 v[6:7], s[6:7], s5, v169, v[8:9]
	v_mov_b32_e32 v5, v6
	v_lshl_add_u64 v[0:1], v[2:3], 4, v[0:1]
	v_lshl_add_u64 v[8:9], v[4:5], 4, v[0:1]
	v_mad_u64_u32 v[20:21], s[6:7], s4, v100, v[8:9]
	s_mulk_i32 s5, 0x8f0
	v_mov_b32_e32 v4, v169
	v_mov_b32_e32 v169, 0
	v_add_u32_e32 v21, s5, v21
	global_load_dwordx4 v[0:3], v[8:9], off
	v_lshl_add_u64 v[40:41], s[12:13], 0, v[168:169]
	v_mov_b32_e32 v169, v4
	global_load_dwordx4 v[4:7], v168, s[12:13]
	global_load_dwordx4 v[8:11], v168, s[12:13] offset:2288
	v_mad_u64_u32 v[22:23], s[6:7], s4, v100, v[20:21]
	v_add_u32_e32 v23, s5, v23
	s_movk_i32 s6, 0x1000
	v_add_co_u32_e32 v28, vcc, s6, v40
	v_mad_u64_u32 v[36:37], s[6:7], s4, v100, v[22:23]
	global_load_dwordx4 v[16:19], v[20:21], off
	global_load_dwordx4 v[12:15], v[22:23], off
	v_add_u32_e32 v37, s5, v37
	v_addc_co_u32_e32 v29, vcc, 0, v41, vcc
	v_mad_u64_u32 v[38:39], s[6:7], s4, v100, v[36:37]
	global_load_dwordx4 v[20:23], v[28:29], off offset:480
	global_load_dwordx4 v[24:27], v[28:29], off offset:2768
	v_add_u32_e32 v39, s5, v39
	s_movk_i32 s6, 0x2000
	v_add_co_u32_e32 v50, vcc, s6, v40
	v_mad_u64_u32 v[52:53], s[6:7], s4, v100, v[38:39]
	global_load_dwordx4 v[32:35], v[36:37], off
	global_load_dwordx4 v[28:31], v[38:39], off
	v_add_u32_e32 v53, s5, v53
	v_mad_u64_u32 v[54:55], s[6:7], s4, v100, v[52:53]
	v_addc_co_u32_e32 v51, vcc, 0, v41, vcc
	global_load_dwordx4 v[36:39], v[52:53], off
	global_load_dwordx4 v[42:45], v[50:51], off offset:960
	global_load_dwordx4 v[46:49], v[50:51], off offset:3248
	v_add_u32_e32 v55, s5, v55
	s_movk_i32 s6, 0x3000
	v_add_co_u32_e32 v66, vcc, s6, v40
	v_mad_u64_u32 v[68:69], s[6:7], s4, v100, v[54:55]
	v_add_u32_e32 v69, s5, v69
	global_load_dwordx4 v[50:53], v[54:55], off
	v_mad_u64_u32 v[70:71], s[6:7], s4, v100, v[68:69]
	v_addc_co_u32_e32 v67, vcc, 0, v41, vcc
	global_load_dwordx4 v[54:57], v[68:69], off
	global_load_dwordx4 v[58:61], v[66:67], off offset:1440
	global_load_dwordx4 v[62:65], v[66:67], off offset:3728
	v_add_u32_e32 v71, s5, v71
	s_movk_i32 s6, 0x4000
	v_add_co_u32_e32 v82, vcc, s6, v40
	v_mad_u64_u32 v[84:85], s[6:7], s4, v100, v[70:71]
	s_nop 0
	v_addc_co_u32_e32 v83, vcc, 0, v41, vcc
	v_add_u32_e32 v85, s5, v85
	s_movk_i32 s6, 0x5000
	global_load_dwordx4 v[66:69], v[70:71], off
	v_add_co_u32_e32 v90, vcc, s6, v40
	v_mad_u64_u32 v[92:93], s[6:7], s4, v100, v[84:85]
	global_load_dwordx4 v[70:73], v[84:85], off
	v_addc_co_u32_e32 v91, vcc, 0, v41, vcc
	global_load_dwordx4 v[74:77], v[82:83], off offset:1920
	global_load_dwordx4 v[78:81], v[90:91], off offset:112
	v_add_u32_e32 v93, s5, v93
	v_mad_u64_u32 v[98:99], s[6:7], s4, v100, v[92:93]
	s_movk_i32 s6, 0x6000
	global_load_dwordx4 v[82:85], v[92:93], off
	global_load_dwordx4 v[86:89], v[90:91], off offset:2400
	v_add_co_u32_e32 v40, vcc, s6, v40
	v_add_u32_e32 v99, s5, v99
	s_nop 0
	v_addc_co_u32_e32 v41, vcc, 0, v41, vcc
	global_load_dwordx4 v[90:93], v[98:99], off
	global_load_dwordx4 v[94:97], v[40:41], off offset:592
	v_mad_u64_u32 v[106:107], s[6:7], s4, v100, v[98:99]
	v_add_u32_e32 v107, s5, v107
	global_load_dwordx4 v[98:101], v[106:107], off
	global_load_dwordx4 v[102:105], v[40:41], off offset:2880
	s_waitcnt vmcnt(24)
	v_mul_f64 v[106:107], v[2:3], v[6:7]
	v_fmac_f64_e32 v[106:107], v[0:1], v[4:5]
	v_mul_f64 v[0:1], v[0:1], v[6:7]
	v_fma_f64 v[108:109], v[2:3], v[4:5], -v[0:1]
	ds_write_b128 v168, v[106:109]
	s_waitcnt vmcnt(22)
	v_mul_f64 v[0:1], v[18:19], v[10:11]
	v_mul_f64 v[2:3], v[16:17], v[10:11]
	v_fmac_f64_e32 v[0:1], v[16:17], v[8:9]
	v_fma_f64 v[2:3], v[18:19], v[8:9], -v[2:3]
	ds_write_b128 v168, v[0:3] offset:2288
	s_waitcnt vmcnt(20)
	v_mul_f64 v[0:1], v[14:15], v[22:23]
	v_mul_f64 v[2:3], v[12:13], v[22:23]
	v_fmac_f64_e32 v[0:1], v[12:13], v[20:21]
	v_fma_f64 v[2:3], v[14:15], v[20:21], -v[2:3]
	ds_write_b128 v168, v[0:3] offset:4576
	;; [unrolled: 6-line block ×12, first 2 shown]
.LBB0_3:
	s_or_b64 exec, exec, s[14:15]
	s_load_dwordx2 s[4:5], s[0:1], 0x20
	s_load_dwordx2 s[10:11], s[0:1], 0x8
	s_waitcnt lgkmcnt(0)
	s_barrier
	s_waitcnt lgkmcnt(0)
                                        ; implicit-def: $vgpr0_vgpr1
                                        ; implicit-def: $vgpr4_vgpr5
                                        ; implicit-def: $vgpr8_vgpr9
                                        ; implicit-def: $vgpr12_vgpr13
                                        ; implicit-def: $vgpr16_vgpr17
                                        ; implicit-def: $vgpr20_vgpr21
                                        ; implicit-def: $vgpr24_vgpr25
                                        ; implicit-def: $vgpr28_vgpr29
                                        ; implicit-def: $vgpr32_vgpr33
                                        ; implicit-def: $vgpr36_vgpr37
                                        ; implicit-def: $vgpr40_vgpr41
                                        ; implicit-def: $vgpr44_vgpr45
                                        ; implicit-def: $vgpr48_vgpr49
	s_and_saveexec_b64 s[0:1], s[2:3]
	s_cbranch_execz .LBB0_5
; %bb.4:
	ds_read_b128 v[0:3], v168
	ds_read_b128 v[4:7], v168 offset:2288
	ds_read_b128 v[8:11], v168 offset:4576
	;; [unrolled: 1-line block ×12, first 2 shown]
.LBB0_5:
	s_or_b64 exec, exec, s[0:1]
	s_mov_b32 s26, 0x4267c47c
	s_waitcnt lgkmcnt(0)
	v_add_f64 v[116:117], v[6:7], -v[50:51]
	s_mov_b32 s0, 0xe00740e9
	s_mov_b32 s27, 0xbfddbe06
	;; [unrolled: 1-line block ×3, first 2 shown]
	v_add_f64 v[78:79], v[4:5], v[48:49]
	v_add_f64 v[102:103], v[4:5], -v[48:49]
	s_mov_b32 s1, 0x3fec55a7
	v_mul_f64 v[72:73], v[116:117], s[26:27]
	s_mov_b32 s6, 0x1ea71119
	s_mov_b32 s23, 0xbfea55e2
	v_add_f64 v[130:131], v[10:11], -v[46:47]
	v_add_f64 v[82:83], v[6:7], v[50:51]
	v_mul_f64 v[74:75], v[102:103], s[26:27]
	v_fma_f64 v[52:53], s[0:1], v[78:79], v[72:73]
	s_mov_b32 s7, 0x3fe22d96
	v_add_f64 v[86:87], v[8:9], v[44:45]
	v_add_f64 v[118:119], v[8:9], -v[44:45]
	v_mul_f64 v[76:77], v[130:131], s[22:23]
	s_mov_b32 s28, 0x66966769
	v_add_f64 v[52:53], v[0:1], v[52:53]
	v_fma_f64 v[54:55], v[82:83], s[0:1], -v[74:75]
	v_add_f64 v[96:97], v[10:11], v[46:47]
	v_mul_f64 v[80:81], v[118:119], s[22:23]
	v_fma_f64 v[56:57], s[6:7], v[86:87], v[76:77]
	v_add_f64 v[142:143], v[14:15], -v[42:43]
	s_mov_b32 s18, 0xebaa3ed8
	s_mov_b32 s29, 0xbfefc445
	v_add_f64 v[54:55], v[2:3], v[54:55]
	v_add_f64 v[52:53], v[56:57], v[52:53]
	v_fma_f64 v[56:57], v[96:97], s[6:7], -v[80:81]
	s_mov_b32 s34, 0x2ef20147
	v_add_f64 v[100:101], v[12:13], v[40:41]
	v_add_f64 v[128:129], v[12:13], -v[40:41]
	s_mov_b32 s19, 0x3fbedb7d
	v_mul_f64 v[84:85], v[142:143], s[28:29]
	v_add_f64 v[54:55], v[56:57], v[54:55]
	s_mov_b32 s14, 0xb2365da1
	s_mov_b32 s35, 0xbfedeba7
	v_add_f64 v[104:105], v[14:15], v[42:43]
	v_mul_f64 v[98:99], v[128:129], s[28:29]
	v_fma_f64 v[56:57], s[18:19], v[100:101], v[84:85]
	v_add_f64 v[152:153], v[18:19], -v[38:39]
	s_mov_b32 s15, 0xbfd6b1d8
	v_add_f64 v[52:53], v[56:57], v[52:53]
	v_fma_f64 v[56:57], v[104:105], s[18:19], -v[98:99]
	v_add_f64 v[110:111], v[16:17], v[36:37]
	v_add_f64 v[146:147], v[16:17], -v[36:37]
	v_mul_f64 v[106:107], v[152:153], s[34:35]
	s_mov_b32 s36, 0x24c2f84
	v_add_f64 v[54:55], v[56:57], v[54:55]
	v_add_f64 v[112:113], v[18:19], v[38:39]
	v_mul_f64 v[108:109], v[146:147], s[34:35]
	v_fma_f64 v[56:57], s[14:15], v[110:111], v[106:107]
	s_mov_b32 s24, 0xd0032e0c
	s_mov_b32 s37, 0x3fe5384d
	v_add_f64 v[166:167], v[22:23], -v[34:35]
	s_mov_b32 s39, 0xbfe5384d
	s_mov_b32 s38, s36
	;; [unrolled: 1-line block ×3, first 2 shown]
	v_add_f64 v[52:53], v[56:57], v[52:53]
	v_fma_f64 v[56:57], v[112:113], s[14:15], -v[108:109]
	s_mov_b32 s25, 0xbfe7f3cc
	v_add_f64 v[124:125], v[20:21], v[32:33]
	v_add_f64 v[158:159], v[20:21], -v[32:33]
	v_mul_f64 v[114:115], v[166:167], s[38:39]
	s_mov_b32 s20, 0x93053d00
	s_mov_b32 s31, 0xbfcea1e5
	v_add_f64 v[54:55], v[56:57], v[54:55]
	v_add_f64 v[126:127], v[22:23], v[34:35]
	v_mul_f64 v[120:121], v[158:159], s[38:39]
	v_fma_f64 v[56:57], s[24:25], v[124:125], v[114:115]
	v_add_f64 v[176:177], v[26:27], -v[30:31]
	s_mov_b32 s21, 0xbfef11f4
	v_add_f64 v[52:53], v[56:57], v[52:53]
	v_fma_f64 v[56:57], v[126:127], s[24:25], -v[120:121]
	v_add_f64 v[134:135], v[24:25], v[28:29]
	v_mul_f64 v[122:123], v[176:177], s[30:31]
	v_add_f64 v[174:175], v[24:25], -v[28:29]
	v_add_f64 v[54:55], v[56:57], v[54:55]
	v_fma_f64 v[56:57], s[20:21], v[134:135], v[122:123]
	v_add_f64 v[136:137], v[26:27], v[30:31]
	v_mul_f64 v[132:133], v[174:175], s[30:31]
	v_add_f64 v[88:89], v[56:57], v[52:53]
	v_fma_f64 v[52:53], v[136:137], s[20:21], -v[132:133]
	v_mul_f64 v[138:139], v[116:117], s[22:23]
	v_add_f64 v[90:91], v[52:53], v[54:55]
	v_fma_f64 v[52:53], s[6:7], v[78:79], v[138:139]
	v_mul_f64 v[140:141], v[130:131], s[34:35]
	v_add_f64 v[52:53], v[0:1], v[52:53]
	v_fma_f64 v[54:55], s[14:15], v[86:87], v[140:141]
	v_mul_f64 v[150:151], v[102:103], s[22:23]
	v_add_f64 v[52:53], v[54:55], v[52:53]
	v_fma_f64 v[54:55], v[82:83], s[6:7], -v[150:151]
	v_mul_f64 v[156:157], v[118:119], s[34:35]
	v_add_f64 v[54:55], v[2:3], v[54:55]
	v_fma_f64 v[56:57], v[96:97], s[14:15], -v[156:157]
	v_mul_f64 v[144:145], v[142:143], s[30:31]
	v_add_f64 v[54:55], v[56:57], v[54:55]
	v_fma_f64 v[56:57], s[20:21], v[100:101], v[144:145]
	v_mul_f64 v[160:161], v[128:129], s[30:31]
	v_add_f64 v[52:53], v[56:57], v[52:53]
	v_fma_f64 v[56:57], v[104:105], s[20:21], -v[160:161]
	v_mul_f64 v[148:149], v[152:153], s[36:37]
	v_add_f64 v[54:55], v[56:57], v[54:55]
	v_fma_f64 v[56:57], s[24:25], v[110:111], v[148:149]
	v_mul_f64 v[164:165], v[146:147], s[36:37]
	s_mov_b32 s43, 0x3fefc445
	s_mov_b32 s42, s28
	v_add_f64 v[52:53], v[56:57], v[52:53]
	v_fma_f64 v[56:57], v[112:113], s[24:25], -v[164:165]
	v_mul_f64 v[154:155], v[166:167], s[42:43]
	v_add_f64 v[54:55], v[56:57], v[54:55]
	v_fma_f64 v[56:57], s[18:19], v[124:125], v[154:155]
	v_mul_f64 v[172:173], v[158:159], s[42:43]
	s_mov_b32 s41, 0x3fddbe06
	s_mov_b32 s40, s26
	v_add_f64 v[52:53], v[56:57], v[52:53]
	v_fma_f64 v[56:57], v[126:127], s[18:19], -v[172:173]
	v_mul_f64 v[162:163], v[176:177], s[40:41]
	v_add_f64 v[54:55], v[56:57], v[54:55]
	v_fma_f64 v[56:57], s[0:1], v[134:135], v[162:163]
	v_mul_f64 v[178:179], v[174:175], s[40:41]
	v_add_f64 v[92:93], v[56:57], v[52:53]
	v_fma_f64 v[52:53], v[136:137], s[0:1], -v[178:179]
	v_add_f64 v[94:95], v[52:53], v[54:55]
	v_mul_lo_u16_e32 v52, 13, v169
	v_accvgpr_write_b32 a1, v52
	s_barrier
	s_and_saveexec_b64 s[16:17], s[2:3]
	s_cbranch_execz .LBB0_7
; %bb.6:
	v_mul_f64 v[58:59], v[82:83], s[20:21]
	s_mov_b32 s47, 0x3fcea1e5
	s_mov_b32 s46, s30
	v_mul_f64 v[56:57], v[96:97], s[0:1]
	v_fma_f64 v[52:53], s[46:47], v[102:103], v[58:59]
	v_add_f64 v[52:53], v[2:3], v[52:53]
	v_fma_f64 v[54:55], s[26:27], v[118:119], v[56:57]
	v_mul_f64 v[60:61], v[104:105], s[24:25]
	v_add_f64 v[52:53], v[54:55], v[52:53]
	v_fma_f64 v[54:55], s[36:37], v[128:129], v[60:61]
	v_mul_f64 v[62:63], v[112:113], s[6:7]
	v_add_f64 v[52:53], v[54:55], v[52:53]
	v_fma_f64 v[54:55], s[22:23], v[146:147], v[62:63]
	s_mov_b32 s45, 0x3fedeba7
	s_mov_b32 s44, s34
	v_mul_f64 v[64:65], v[126:127], s[14:15]
	v_add_f64 v[52:53], v[54:55], v[52:53]
	v_fma_f64 v[54:55], s[44:45], v[158:159], v[64:65]
	v_mul_f64 v[66:67], v[116:117], s[30:31]
	v_add_f64 v[52:53], v[54:55], v[52:53]
	v_fma_f64 v[54:55], s[20:21], v[78:79], v[66:67]
	;; [unrolled: 3-line block ×3, first 2 shown]
	v_fmac_f64_e32 v[58:59], s[30:31], v[102:103]
	v_add_f64 v[54:55], v[70:71], v[54:55]
	v_mul_f64 v[70:71], v[142:143], s[38:39]
	v_fmac_f64_e32 v[56:57], s[40:41], v[118:119]
	v_add_f64 v[58:59], v[2:3], v[58:59]
	v_fma_f64 v[170:171], s[24:25], v[100:101], v[70:71]
	s_mov_b32 s49, 0x3fea55e2
	s_mov_b32 s48, s22
	v_add_f64 v[56:57], v[56:57], v[58:59]
	v_fmac_f64_e32 v[60:61], s[38:39], v[128:129]
	v_add_f64 v[54:55], v[170:171], v[54:55]
	v_mul_f64 v[170:171], v[152:153], s[48:49]
	v_add_f64 v[56:57], v[60:61], v[56:57]
	v_fma_f64 v[60:61], v[78:79], s[20:21], -v[66:67]
	v_fma_f64 v[180:181], s[6:7], v[110:111], v[170:171]
	v_fma_f64 v[58:59], v[86:87], s[0:1], -v[68:69]
	v_add_f64 v[60:61], v[0:1], v[60:61]
	v_add_f64 v[54:55], v[180:181], v[54:55]
	v_mul_f64 v[180:181], v[166:167], s[34:35]
	v_fmac_f64_e32 v[62:63], s[48:49], v[146:147]
	v_add_f64 v[58:59], v[58:59], v[60:61]
	v_fma_f64 v[60:61], v[100:101], s[24:25], -v[70:71]
	v_fma_f64 v[182:183], s[14:15], v[124:125], v[180:181]
	v_mul_f64 v[184:185], v[136:137], s[18:19]
	v_add_f64 v[56:57], v[62:63], v[56:57]
	v_fmac_f64_e32 v[64:65], s[34:35], v[158:159]
	v_add_f64 v[58:59], v[60:61], v[58:59]
	v_fma_f64 v[60:61], v[110:111], s[6:7], -v[170:171]
	v_add_f64 v[182:183], v[182:183], v[54:55]
	v_fma_f64 v[54:55], s[28:29], v[174:175], v[184:185]
	v_mul_f64 v[186:187], v[176:177], s[42:43]
	v_add_f64 v[56:57], v[64:65], v[56:57]
	v_add_f64 v[58:59], v[60:61], v[58:59]
	v_fma_f64 v[60:61], v[124:125], s[14:15], -v[180:181]
	v_fmac_f64_e32 v[184:185], s[42:43], v[174:175]
	v_add_f64 v[60:61], v[60:61], v[58:59]
	v_add_f64 v[58:59], v[184:185], v[56:57]
	v_fma_f64 v[56:57], v[134:135], s[18:19], -v[186:187]
	v_mul_f64 v[64:65], v[82:83], s[24:25]
	v_add_f64 v[56:57], v[56:57], v[60:61]
	v_fma_f64 v[60:61], s[36:37], v[102:103], v[64:65]
	v_mul_f64 v[66:67], v[96:97], s[18:19]
	v_add_f64 v[60:61], v[2:3], v[60:61]
	v_fma_f64 v[62:63], s[28:29], v[118:119], v[66:67]
	;; [unrolled: 3-line block ×5, first 2 shown]
	v_add_f64 v[60:61], v[62:63], v[60:61]
	v_fma_f64 v[62:63], s[26:27], v[158:159], v[170:171]
	v_mul_f64 v[180:181], v[116:117], s[38:39]
	v_add_f64 v[52:53], v[52:53], v[182:183]
	v_add_f64 v[60:61], v[62:63], v[60:61]
	v_fma_f64 v[62:63], s[24:25], v[78:79], v[180:181]
	v_mul_f64 v[182:183], v[130:131], s[42:43]
	v_add_f64 v[62:63], v[0:1], v[62:63]
	v_fma_f64 v[184:185], s[18:19], v[86:87], v[182:183]
	v_fmac_f64_e32 v[64:65], s[38:39], v[102:103]
	v_add_f64 v[62:63], v[184:185], v[62:63]
	v_mul_f64 v[184:185], v[142:143], s[22:23]
	v_fmac_f64_e32 v[66:67], s[42:43], v[118:119]
	v_add_f64 v[64:65], v[2:3], v[64:65]
	v_fma_f64 v[186:187], s[6:7], v[100:101], v[184:185]
	v_add_f64 v[64:65], v[66:67], v[64:65]
	v_fmac_f64_e32 v[68:69], s[22:23], v[128:129]
	v_add_f64 v[62:63], v[186:187], v[62:63]
	v_mul_f64 v[186:187], v[152:153], s[46:47]
	v_add_f64 v[64:65], v[68:69], v[64:65]
	v_fma_f64 v[68:69], v[78:79], s[24:25], -v[180:181]
	v_fma_f64 v[188:189], s[20:21], v[110:111], v[186:187]
	v_fma_f64 v[66:67], v[86:87], s[18:19], -v[182:183]
	v_add_f64 v[68:69], v[0:1], v[68:69]
	v_add_f64 v[62:63], v[188:189], v[62:63]
	v_mul_f64 v[188:189], v[166:167], s[40:41]
	v_fmac_f64_e32 v[70:71], s[46:47], v[146:147]
	v_add_f64 v[66:67], v[66:67], v[68:69]
	v_fma_f64 v[68:69], v[100:101], s[6:7], -v[184:185]
	v_fma_f64 v[190:191], s[0:1], v[124:125], v[188:189]
	v_mul_f64 v[192:193], v[136:137], s[14:15]
	v_add_f64 v[64:65], v[70:71], v[64:65]
	v_fmac_f64_e32 v[170:171], s[40:41], v[158:159]
	v_add_f64 v[66:67], v[68:69], v[66:67]
	v_fma_f64 v[68:69], v[110:111], s[20:21], -v[186:187]
	v_add_f64 v[190:191], v[190:191], v[62:63]
	v_fma_f64 v[62:63], s[44:45], v[174:175], v[192:193]
	v_mul_f64 v[194:195], v[176:177], s[34:35]
	v_add_f64 v[64:65], v[170:171], v[64:65]
	v_add_f64 v[66:67], v[68:69], v[66:67]
	v_fma_f64 v[68:69], v[124:125], s[0:1], -v[188:189]
	v_fmac_f64_e32 v[192:193], s[34:35], v[174:175]
	v_add_f64 v[68:69], v[68:69], v[66:67]
	v_add_f64 v[66:67], v[192:193], v[64:65]
	v_fma_f64 v[64:65], v[134:135], s[14:15], -v[194:195]
	v_mul_f64 v[170:171], v[82:83], s[14:15]
	v_add_f64 v[64:65], v[64:65], v[68:69]
	v_fma_f64 v[68:69], s[44:45], v[102:103], v[170:171]
	v_mul_f64 v[180:181], v[96:97], s[24:25]
	v_add_f64 v[68:69], v[2:3], v[68:69]
	v_fma_f64 v[70:71], s[38:39], v[118:119], v[180:181]
	;; [unrolled: 3-line block ×5, first 2 shown]
	v_add_f64 v[68:69], v[70:71], v[68:69]
	v_fma_f64 v[70:71], s[30:31], v[158:159], v[186:187]
	v_mul_f64 v[188:189], v[116:117], s[34:35]
	v_add_f64 v[60:61], v[60:61], v[190:191]
	v_add_f64 v[68:69], v[70:71], v[68:69]
	v_fma_f64 v[70:71], s[14:15], v[78:79], v[188:189]
	v_mul_f64 v[190:191], v[130:131], s[36:37]
	v_add_f64 v[70:71], v[0:1], v[70:71]
	v_fma_f64 v[192:193], s[24:25], v[86:87], v[190:191]
	v_fmac_f64_e32 v[170:171], s[34:35], v[102:103]
	v_add_f64 v[70:71], v[192:193], v[70:71]
	v_mul_f64 v[192:193], v[142:143], s[40:41]
	v_fmac_f64_e32 v[180:181], s[36:37], v[118:119]
	v_add_f64 v[170:171], v[2:3], v[170:171]
	v_fma_f64 v[194:195], s[0:1], v[100:101], v[192:193]
	v_add_f64 v[170:171], v[180:181], v[170:171]
	v_fmac_f64_e32 v[182:183], s[40:41], v[128:129]
	v_add_f64 v[70:71], v[194:195], v[70:71]
	v_mul_f64 v[194:195], v[152:153], s[28:29]
	v_add_f64 v[170:171], v[182:183], v[170:171]
	v_fma_f64 v[182:183], v[78:79], s[14:15], -v[188:189]
	v_fma_f64 v[196:197], s[18:19], v[110:111], v[194:195]
	v_fma_f64 v[180:181], v[86:87], s[24:25], -v[190:191]
	v_add_f64 v[182:183], v[0:1], v[182:183]
	v_add_f64 v[70:71], v[196:197], v[70:71]
	v_mul_f64 v[196:197], v[166:167], s[46:47]
	v_fmac_f64_e32 v[184:185], s[28:29], v[146:147]
	v_add_f64 v[180:181], v[180:181], v[182:183]
	v_fma_f64 v[182:183], v[100:101], s[0:1], -v[192:193]
	v_fma_f64 v[198:199], s[20:21], v[124:125], v[196:197]
	v_mul_f64 v[200:201], v[136:137], s[6:7]
	v_add_f64 v[170:171], v[184:185], v[170:171]
	v_fmac_f64_e32 v[186:187], s[46:47], v[158:159]
	v_add_f64 v[180:181], v[182:183], v[180:181]
	v_fma_f64 v[182:183], v[110:111], s[18:19], -v[194:195]
	v_add_f64 v[198:199], v[198:199], v[70:71]
	v_fma_f64 v[70:71], s[22:23], v[174:175], v[200:201]
	v_mul_f64 v[202:203], v[176:177], s[48:49]
	v_add_f64 v[170:171], v[186:187], v[170:171]
	v_add_f64 v[180:181], v[182:183], v[180:181]
	v_fma_f64 v[182:183], v[124:125], s[20:21], -v[196:197]
	v_fmac_f64_e32 v[200:201], s[48:49], v[174:175]
	v_add_f64 v[180:181], v[182:183], v[180:181]
	v_add_f64 v[182:183], v[200:201], v[170:171]
	v_fma_f64 v[170:171], v[134:135], s[6:7], -v[202:203]
	v_add_f64 v[180:181], v[170:171], v[180:181]
	v_mul_f64 v[170:171], v[82:83], s[18:19]
	v_fma_f64 v[184:185], s[42:43], v[102:103], v[170:171]
	v_mul_f64 v[188:189], v[96:97], s[20:21]
	v_add_f64 v[184:185], v[2:3], v[184:185]
	v_fma_f64 v[186:187], s[46:47], v[118:119], v[188:189]
	v_mul_f64 v[190:191], v[104:105], s[14:15]
	v_add_f64 v[184:185], v[186:187], v[184:185]
	;; [unrolled: 3-line block ×5, first 2 shown]
	v_mul_f64 v[130:131], v[130:131], s[30:31]
	v_fma_f64 v[186:187], s[18:19], v[78:79], v[116:117]
	v_fma_f64 v[116:117], v[78:79], s[18:19], -v[116:117]
	v_add_f64 v[186:187], v[0:1], v[186:187]
	v_fma_f64 v[196:197], s[20:21], v[86:87], v[130:131]
	v_mul_f64 v[142:143], v[142:143], s[44:45]
	v_fmac_f64_e32 v[188:189], s[30:31], v[118:119]
	v_fma_f64 v[118:119], v[86:87], s[20:21], -v[130:131]
	v_add_f64 v[116:117], v[0:1], v[116:117]
	v_add_f64 v[186:187], v[196:197], v[186:187]
	v_fma_f64 v[196:197], s[14:15], v[100:101], v[142:143]
	v_mul_f64 v[152:153], v[152:153], s[40:41]
	v_add_f64 v[116:117], v[118:119], v[116:117]
	v_fma_f64 v[118:119], v[100:101], s[14:15], -v[142:143]
	v_add_f64 v[186:187], v[196:197], v[186:187]
	v_fma_f64 v[196:197], s[0:1], v[110:111], v[152:153]
	v_add_f64 v[116:117], v[118:119], v[116:117]
	v_fma_f64 v[118:119], v[110:111], s[0:1], -v[152:153]
	v_mul_f64 v[152:153], v[82:83], s[6:7]
	v_fmac_f64_e32 v[192:193], s[40:41], v[146:147]
	v_mul_f64 v[146:147], v[96:97], s[14:15]
	v_add_f64 v[150:151], v[150:151], v[152:153]
	v_mul_f64 v[142:143], v[104:105], s[20:21]
	v_add_f64 v[146:147], v[156:157], v[146:147]
	v_add_f64 v[150:151], v[2:3], v[150:151]
	;; [unrolled: 1-line block ×5, first 2 shown]
	v_mul_f64 v[146:147], v[78:79], s[0:1]
	v_mul_f64 v[82:83], v[82:83], s[0:1]
	;; [unrolled: 1-line block ×3, first 2 shown]
	v_fmac_f64_e32 v[170:171], s[28:29], v[102:103]
	v_add_f64 v[78:79], v[78:79], -v[138:139]
	v_add_f64 v[74:75], v[74:75], v[82:83]
	v_add_f64 v[72:73], v[146:147], -v[72:73]
	v_add_f64 v[102:103], v[2:3], v[170:171]
	v_add_f64 v[78:79], v[0:1], v[78:79]
	;; [unrolled: 1-line block ×8, first 2 shown]
	v_mul_f64 v[130:131], v[112:113], s[24:25]
	v_add_f64 v[2:3], v[2:3], v[14:15]
	v_add_f64 v[0:1], v[0:1], v[12:13]
	;; [unrolled: 1-line block ×5, first 2 shown]
	v_fmac_f64_e32 v[190:191], s[44:45], v[128:129]
	v_add_f64 v[102:103], v[188:189], v[102:103]
	v_add_f64 v[130:131], v[130:131], v[142:143]
	v_mul_f64 v[142:143], v[86:87], s[6:7]
	v_mul_f64 v[86:87], v[86:87], s[14:15]
	;; [unrolled: 1-line block ×3, first 2 shown]
	v_add_f64 v[2:3], v[2:3], v[22:23]
	v_add_f64 v[0:1], v[0:1], v[20:21]
	;; [unrolled: 1-line block ×3, first 2 shown]
	v_fma_f64 v[68:69], s[6:7], v[134:135], v[202:203]
	v_mul_f64 v[166:167], v[166:167], s[22:23]
	v_add_f64 v[102:103], v[190:191], v[102:103]
	v_mul_f64 v[96:97], v[96:97], s[6:7]
	v_add_f64 v[148:149], v[152:153], -v[148:149]
	v_mul_f64 v[152:153], v[100:101], s[18:19]
	v_mul_f64 v[100:101], v[100:101], s[20:21]
	v_add_f64 v[86:87], v[86:87], -v[140:141]
	v_add_f64 v[2:3], v[2:3], v[26:27]
	v_add_f64 v[0:1], v[0:1], v[24:25]
	;; [unrolled: 1-line block ×4, first 2 shown]
	v_fma_f64 v[196:197], s[6:7], v[124:125], v[166:167]
	v_mul_f64 v[198:199], v[136:137], s[24:25]
	v_fmac_f64_e32 v[194:195], s[22:23], v[158:159]
	v_add_f64 v[102:103], v[192:193], v[102:103]
	v_mul_f64 v[128:129], v[126:127], s[18:19]
	v_mul_f64 v[104:105], v[104:105], s[18:19]
	v_add_f64 v[100:101], v[100:101], -v[144:145]
	v_add_f64 v[78:79], v[86:87], v[78:79]
	v_add_f64 v[80:81], v[80:81], v[96:97]
	;; [unrolled: 1-line block ×5, first 2 shown]
	v_fma_f64 v[186:187], s[36:37], v[174:175], v[198:199]
	v_mul_f64 v[176:177], v[176:177], s[38:39]
	v_fmac_f64_e32 v[198:199], s[38:39], v[174:175]
	v_add_f64 v[102:103], v[194:195], v[102:103]
	v_add_f64 v[116:117], v[118:119], v[116:117]
	v_fma_f64 v[118:119], v[124:125], s[6:7], -v[166:167]
	v_add_f64 v[128:129], v[172:173], v[128:129]
	v_mul_f64 v[150:151], v[124:125], s[18:19]
	v_mul_f64 v[112:113], v[112:113], s[14:15]
	v_add_f64 v[78:79], v[100:101], v[78:79]
	v_add_f64 v[98:99], v[98:99], v[104:105]
	;; [unrolled: 1-line block ×3, first 2 shown]
	v_add_f64 v[76:77], v[142:143], -v[76:77]
	v_add_f64 v[2:3], v[2:3], v[34:35]
	v_add_f64 v[0:1], v[0:1], v[32:33]
	;; [unrolled: 1-line block ×4, first 2 shown]
	v_fma_f64 v[102:103], v[134:135], s[24:25], -v[176:177]
	v_add_f64 v[128:129], v[128:129], v[130:131]
	v_mul_f64 v[130:131], v[134:135], s[0:1]
	v_add_f64 v[150:151], v[150:151], -v[154:155]
	v_mul_f64 v[110:111], v[110:111], s[14:15]
	v_mul_f64 v[126:127], v[126:127], s[24:25]
	v_add_f64 v[78:79], v[148:149], v[78:79]
	v_add_f64 v[108:109], v[108:109], v[112:113]
	;; [unrolled: 1-line block ×3, first 2 shown]
	v_add_f64 v[84:85], v[152:153], -v[84:85]
	v_add_f64 v[72:73], v[76:77], v[72:73]
	v_add_f64 v[2:3], v[2:3], v[38:39]
	;; [unrolled: 1-line block ×4, first 2 shown]
	v_mul_f64 v[102:103], v[136:137], s[0:1]
	v_add_f64 v[130:131], v[130:131], -v[162:163]
	v_mul_f64 v[124:125], v[124:125], s[24:25]
	v_mul_f64 v[136:137], v[136:137], s[20:21]
	v_add_f64 v[78:79], v[150:151], v[78:79]
	v_add_f64 v[86:87], v[120:121], v[126:127]
	;; [unrolled: 1-line block ×3, first 2 shown]
	v_add_f64 v[82:83], v[110:111], -v[106:107]
	v_add_f64 v[72:73], v[84:85], v[72:73]
	v_add_f64 v[2:3], v[2:3], v[42:43]
	;; [unrolled: 1-line block ×4, first 2 shown]
	v_fma_f64 v[184:185], s[24:25], v[134:135], v[176:177]
	v_mul_f64 v[134:135], v[134:135], s[20:21]
	v_add_f64 v[100:101], v[130:131], v[78:79]
	v_add_f64 v[78:79], v[132:133], v[136:137]
	v_add_f64 v[74:75], v[86:87], v[74:75]
	v_add_f64 v[80:81], v[124:125], -v[114:115]
	v_add_f64 v[72:73], v[82:83], v[72:73]
	v_add_f64 v[2:3], v[2:3], v[46:47]
	;; [unrolled: 1-line block ×3, first 2 shown]
	v_accvgpr_read_b32 v4, a1
	v_add_f64 v[102:103], v[178:179], v[102:103]
	v_add_f64 v[74:75], v[78:79], v[74:75]
	v_add_f64 v[78:79], v[134:135], -v[122:123]
	v_add_f64 v[72:73], v[80:81], v[72:73]
	v_add_f64 v[2:3], v[2:3], v[50:51]
	v_add_f64 v[0:1], v[0:1], v[48:49]
	v_lshlrev_b32_e32 v4, 4, v4
	v_add_f64 v[184:185], v[184:185], v[196:197]
	v_add_f64 v[102:103], v[102:103], v[128:129]
	;; [unrolled: 1-line block ×3, first 2 shown]
	ds_write_b128 v4, v[0:3]
	ds_write_b128 v4, v[72:75] offset:16
	ds_write_b128 v4, v[100:103] offset:32
	;; [unrolled: 1-line block ×12, first 2 shown]
.LBB0_7:
	s_or_b64 exec, exec, s[16:17]
	s_movk_i32 s0, 0x4f
	v_mul_lo_u16_sdwa v0, v169, s0 dst_sel:DWORD dst_unused:UNUSED_PAD src0_sel:BYTE_0 src1_sel:DWORD
	v_lshrrev_b16_e32 v56, 10, v0
	v_mul_lo_u16_e32 v0, 13, v56
	v_sub_u16_e32 v0, v169, v0
	v_and_b32_e32 v57, 0xff, v0
	v_mul_u32_u24_e32 v0, 10, v57
	v_lshlrev_b32_e32 v32, 4, v0
	s_load_dwordx4 s[4:7], s[4:5], 0x0
	s_waitcnt lgkmcnt(0)
	s_barrier
	global_load_dwordx4 v[12:15], v32, s[10:11]
	global_load_dwordx4 v[8:11], v32, s[10:11] offset:16
	global_load_dwordx4 v[4:7], v32, s[10:11] offset:32
	;; [unrolled: 1-line block ×9, first 2 shown]
	ds_read_b128 v[58:61], v168
	ds_read_b128 v[44:47], v168 offset:2704
	ds_read_b128 v[52:55], v168 offset:5408
	;; [unrolled: 1-line block ×10, first 2 shown]
	s_mov_b32 s20, 0xf8bb580b
	s_mov_b32 s18, 0x43842ef
	;; [unrolled: 1-line block ×26, first 2 shown]
	s_waitcnt lgkmcnt(0)
	s_barrier
	s_waitcnt vmcnt(9)
	v_mul_f64 v[86:87], v[46:47], v[14:15]
	v_mul_f64 v[104:105], v[44:45], v[14:15]
	s_waitcnt vmcnt(8)
	v_mul_f64 v[106:107], v[54:55], v[10:11]
	v_fma_f64 v[86:87], v[44:45], v[12:13], -v[86:87]
	s_waitcnt vmcnt(5)
	v_mul_f64 v[116:117], v[72:73], v[30:31]
	v_mul_f64 v[108:109], v[52:53], v[10:11]
	;; [unrolled: 1-line block ×4, first 2 shown]
	v_fmac_f64_e32 v[104:105], v[46:47], v[12:13]
	v_fma_f64 v[106:107], v[52:53], v[8:9], -v[106:107]
	v_fma_f64 v[44:45], v[70:71], v[28:29], -v[116:117]
	v_add_f64 v[70:71], v[58:59], v[86:87]
	v_mul_f64 v[112:113], v[62:63], v[6:7]
	v_mul_f64 v[114:115], v[68:69], v[2:3]
	v_fmac_f64_e32 v[108:109], v[54:55], v[8:9]
	v_fma_f64 v[62:63], v[62:63], v[4:5], -v[110:111]
	v_fmac_f64_e32 v[32:33], v[72:73], v[28:29]
	v_add_f64 v[72:73], v[60:61], v[104:105]
	v_add_f64 v[70:71], v[70:71], v[106:107]
	v_mul_f64 v[48:49], v[66:67], v[2:3]
	v_fmac_f64_e32 v[112:113], v[64:65], v[4:5]
	v_fma_f64 v[52:53], v[66:67], v[0:1], -v[114:115]
	v_add_f64 v[72:73], v[72:73], v[108:109]
	v_add_f64 v[70:71], v[70:71], v[62:63]
	s_waitcnt vmcnt(4)
	v_mul_f64 v[118:119], v[76:77], v[26:27]
	v_fmac_f64_e32 v[48:49], v[68:69], v[0:1]
	v_add_f64 v[72:73], v[72:73], v[112:113]
	v_add_f64 v[70:71], v[70:71], v[52:53]
	v_mul_f64 v[34:35], v[74:75], v[26:27]
	s_waitcnt vmcnt(3)
	v_mul_f64 v[120:121], v[80:81], v[22:23]
	v_fma_f64 v[46:47], v[74:75], v[24:25], -v[118:119]
	v_add_f64 v[72:73], v[72:73], v[48:49]
	v_add_f64 v[70:71], v[70:71], v[44:45]
	v_mul_f64 v[50:51], v[78:79], v[22:23]
	s_waitcnt vmcnt(2)
	v_mul_f64 v[122:123], v[84:85], v[18:19]
	v_fmac_f64_e32 v[34:35], v[76:77], v[24:25]
	v_fma_f64 v[54:55], v[78:79], v[20:21], -v[120:121]
	v_add_f64 v[72:73], v[72:73], v[32:33]
	v_add_f64 v[70:71], v[70:71], v[46:47]
	v_mul_f64 v[124:125], v[82:83], v[18:19]
	s_waitcnt vmcnt(1)
	v_mul_f64 v[126:127], v[98:99], v[42:43]
	s_waitcnt vmcnt(0)
	v_mul_f64 v[130:131], v[102:103], v[38:39]
	v_mul_f64 v[132:133], v[100:101], v[38:39]
	v_fmac_f64_e32 v[50:51], v[80:81], v[20:21]
	v_fma_f64 v[64:65], v[82:83], v[16:17], -v[122:123]
	v_add_f64 v[72:73], v[72:73], v[34:35]
	v_add_f64 v[70:71], v[70:71], v[54:55]
	v_mul_f64 v[128:129], v[96:97], v[42:43]
	v_fmac_f64_e32 v[124:125], v[84:85], v[16:17]
	v_fma_f64 v[66:67], v[96:97], v[40:41], -v[126:127]
	v_fma_f64 v[68:69], v[100:101], v[36:37], -v[130:131]
	v_fmac_f64_e32 v[132:133], v[102:103], v[36:37]
	v_add_f64 v[72:73], v[72:73], v[50:51]
	v_add_f64 v[70:71], v[70:71], v[64:65]
	v_fmac_f64_e32 v[128:129], v[98:99], v[40:41]
	v_add_f64 v[78:79], v[86:87], -v[68:69]
	v_add_f64 v[80:81], v[104:105], -v[132:133]
	v_add_f64 v[72:73], v[72:73], v[124:125]
	v_add_f64 v[70:71], v[70:71], v[66:67]
	;; [unrolled: 1-line block ×4, first 2 shown]
	v_mul_f64 v[82:83], v[80:81], s[20:21]
	v_add_f64 v[72:73], v[72:73], v[128:129]
	v_add_f64 v[96:97], v[70:71], v[68:69]
	v_mul_f64 v[70:71], v[78:79], s[20:21]
	v_mul_f64 v[84:85], v[80:81], s[16:17]
	;; [unrolled: 1-line block ×9, first 2 shown]
	v_add_f64 v[98:99], v[72:73], v[132:133]
	v_fma_f64 v[68:69], v[74:75], s[22:23], -v[82:83]
	v_fma_f64 v[72:73], s[22:23], v[76:77], v[70:71]
	v_fmac_f64_e32 v[82:83], s[22:23], v[74:75]
	v_fma_f64 v[70:71], v[76:77], s[22:23], -v[70:71]
	v_fma_f64 v[86:87], v[74:75], s[0:1], -v[84:85]
	v_fma_f64 v[102:103], s[0:1], v[76:77], v[100:101]
	v_fmac_f64_e32 v[84:85], s[0:1], v[74:75]
	v_fma_f64 v[100:101], v[76:77], s[0:1], -v[100:101]
	;; [unrolled: 4-line block ×5, first 2 shown]
	v_add_f64 v[78:79], v[108:109], -v[128:129]
	v_add_f64 v[68:69], v[58:59], v[68:69]
	v_add_f64 v[72:73], v[60:61], v[72:73]
	v_add_f64 v[82:83], v[58:59], v[82:83]
	v_add_f64 v[70:71], v[60:61], v[70:71]
	v_add_f64 v[86:87], v[58:59], v[86:87]
	v_add_f64 v[102:103], v[60:61], v[102:103]
	v_add_f64 v[84:85], v[58:59], v[84:85]
	v_add_f64 v[100:101], v[60:61], v[100:101]
	v_add_f64 v[110:111], v[58:59], v[110:111]
	v_add_f64 v[116:117], v[60:61], v[116:117]
	v_add_f64 v[104:105], v[58:59], v[104:105]
	v_add_f64 v[114:115], v[60:61], v[114:115]
	v_add_f64 v[120:121], v[58:59], v[120:121]
	v_add_f64 v[126:127], v[60:61], v[126:127]
	v_add_f64 v[118:119], v[58:59], v[118:119]
	v_add_f64 v[122:123], v[60:61], v[122:123]
	v_add_f64 v[130:131], v[58:59], v[130:131]
	v_add_f64 v[132:133], v[60:61], v[132:133]
	v_add_f64 v[58:59], v[58:59], v[80:81]
	v_add_f64 v[60:61], v[60:61], v[74:75]
	v_add_f64 v[74:75], v[106:107], v[66:67]
	v_mul_f64 v[80:81], v[78:79], s[16:17]
	v_add_f64 v[66:67], v[106:107], -v[66:67]
	v_fma_f64 v[106:107], v[74:75], s[0:1], -v[80:81]
	v_add_f64 v[76:77], v[108:109], v[128:129]
	v_add_f64 v[68:69], v[106:107], v[68:69]
	v_mul_f64 v[106:107], v[66:67], s[16:17]
	v_fmac_f64_e32 v[80:81], s[0:1], v[74:75]
	v_add_f64 v[80:81], v[80:81], v[82:83]
	v_fma_f64 v[82:83], v[76:77], s[0:1], -v[106:107]
	v_add_f64 v[70:71], v[82:83], v[70:71]
	v_mul_f64 v[82:83], v[78:79], s[26:27]
	v_fma_f64 v[108:109], s[0:1], v[76:77], v[106:107]
	v_fma_f64 v[106:107], v[74:75], s[24:25], -v[82:83]
	v_add_f64 v[86:87], v[106:107], v[86:87]
	v_mul_f64 v[106:107], v[66:67], s[26:27]
	v_fmac_f64_e32 v[82:83], s[24:25], v[74:75]
	v_add_f64 v[82:83], v[82:83], v[84:85]
	v_fma_f64 v[84:85], v[76:77], s[24:25], -v[106:107]
	v_add_f64 v[72:73], v[108:109], v[72:73]
	v_fma_f64 v[108:109], s[24:25], v[76:77], v[106:107]
	v_add_f64 v[84:85], v[84:85], v[100:101]
	v_mul_f64 v[100:101], v[78:79], s[38:39]
	v_add_f64 v[102:103], v[108:109], v[102:103]
	v_fma_f64 v[106:107], v[74:75], s[28:29], -v[100:101]
	v_mul_f64 v[108:109], v[66:67], s[38:39]
	v_fmac_f64_e32 v[100:101], s[28:29], v[74:75]
	v_add_f64 v[106:107], v[106:107], v[110:111]
	v_fma_f64 v[110:111], s[28:29], v[76:77], v[108:109]
	v_add_f64 v[100:101], v[100:101], v[104:105]
	v_fma_f64 v[104:105], v[76:77], s[28:29], -v[108:109]
	v_mul_f64 v[108:109], v[78:79], s[36:37]
	v_add_f64 v[110:111], v[110:111], v[116:117]
	v_add_f64 v[104:105], v[104:105], v[114:115]
	v_fma_f64 v[114:115], v[74:75], s[14:15], -v[108:109]
	v_mul_f64 v[116:117], v[66:67], s[36:37]
	v_add_f64 v[114:115], v[114:115], v[120:121]
	v_fma_f64 v[120:121], s[14:15], v[76:77], v[116:117]
	v_fma_f64 v[116:117], v[76:77], s[14:15], -v[116:117]
	v_mul_f64 v[66:67], v[66:67], s[34:35]
	v_add_f64 v[116:117], v[116:117], v[122:123]
	v_fma_f64 v[122:123], s[22:23], v[76:77], v[66:67]
	v_fma_f64 v[66:67], v[76:77], s[22:23], -v[66:67]
	v_fmac_f64_e32 v[108:109], s[14:15], v[74:75]
	v_mul_f64 v[78:79], v[78:79], s[34:35]
	v_add_f64 v[60:61], v[66:67], v[60:61]
	v_add_f64 v[66:67], v[62:63], v[64:65]
	v_add_f64 v[62:63], v[62:63], -v[64:65]
	v_add_f64 v[64:65], v[112:113], -v[124:125]
	v_add_f64 v[108:109], v[108:109], v[118:119]
	v_fma_f64 v[118:119], v[74:75], s[22:23], -v[78:79]
	v_fmac_f64_e32 v[78:79], s[22:23], v[74:75]
	v_mul_f64 v[76:77], v[64:65], s[18:19]
	v_add_f64 v[58:59], v[78:79], v[58:59]
	v_fma_f64 v[78:79], v[66:67], s[14:15], -v[76:77]
	v_add_f64 v[74:75], v[112:113], v[124:125]
	v_add_f64 v[68:69], v[78:79], v[68:69]
	v_mul_f64 v[78:79], v[62:63], s[18:19]
	v_fma_f64 v[112:113], s[14:15], v[74:75], v[78:79]
	v_fma_f64 v[78:79], v[74:75], s[14:15], -v[78:79]
	v_fmac_f64_e32 v[76:77], s[14:15], v[66:67]
	v_add_f64 v[70:71], v[78:79], v[70:71]
	v_mul_f64 v[78:79], v[64:65], s[38:39]
	v_add_f64 v[76:77], v[76:77], v[80:81]
	v_fma_f64 v[80:81], v[66:67], s[28:29], -v[78:79]
	v_add_f64 v[80:81], v[80:81], v[86:87]
	v_mul_f64 v[86:87], v[62:63], s[38:39]
	v_fmac_f64_e32 v[78:79], s[28:29], v[66:67]
	v_add_f64 v[78:79], v[78:79], v[82:83]
	v_fma_f64 v[82:83], v[74:75], s[28:29], -v[86:87]
	s_mov_b32 s17, 0x3fed1bb4
	v_add_f64 v[82:83], v[82:83], v[84:85]
	v_mul_f64 v[84:85], v[64:65], s[16:17]
	v_add_f64 v[72:73], v[112:113], v[72:73]
	v_fma_f64 v[112:113], s[28:29], v[74:75], v[86:87]
	v_fma_f64 v[86:87], v[66:67], s[0:1], -v[84:85]
	v_add_f64 v[86:87], v[86:87], v[106:107]
	v_mul_f64 v[106:107], v[62:63], s[16:17]
	v_fmac_f64_e32 v[84:85], s[0:1], v[66:67]
	v_add_f64 v[84:85], v[84:85], v[100:101]
	v_fma_f64 v[100:101], v[74:75], s[0:1], -v[106:107]
	v_add_f64 v[102:103], v[112:113], v[102:103]
	v_fma_f64 v[112:113], s[0:1], v[74:75], v[106:107]
	v_add_f64 v[100:101], v[100:101], v[104:105]
	v_mul_f64 v[104:105], v[64:65], s[20:21]
	v_add_f64 v[110:111], v[112:113], v[110:111]
	v_fma_f64 v[106:107], v[66:67], s[22:23], -v[104:105]
	v_mul_f64 v[112:113], v[62:63], s[20:21]
	v_fmac_f64_e32 v[104:105], s[22:23], v[66:67]
	v_mul_f64 v[64:65], v[64:65], s[26:27]
	v_add_f64 v[106:107], v[106:107], v[114:115]
	v_fma_f64 v[114:115], s[22:23], v[74:75], v[112:113]
	v_add_f64 v[104:105], v[104:105], v[108:109]
	v_fma_f64 v[108:109], v[74:75], s[22:23], -v[112:113]
	v_fma_f64 v[112:113], v[66:67], s[24:25], -v[64:65]
	v_mul_f64 v[62:63], v[62:63], s[26:27]
	v_fmac_f64_e32 v[64:65], s[24:25], v[66:67]
	v_add_f64 v[108:109], v[108:109], v[116:117]
	v_fma_f64 v[116:117], s[24:25], v[74:75], v[62:63]
	v_add_f64 v[58:59], v[64:65], v[58:59]
	v_fma_f64 v[62:63], v[74:75], s[24:25], -v[62:63]
	v_add_f64 v[64:65], v[48:49], v[50:51]
	v_add_f64 v[48:49], v[48:49], -v[50:51]
	v_add_f64 v[60:61], v[62:63], v[60:61]
	v_add_f64 v[62:63], v[52:53], v[54:55]
	v_add_f64 v[52:53], v[52:53], -v[54:55]
	v_mul_f64 v[50:51], v[48:49], s[26:27]
	v_fma_f64 v[54:55], v[62:63], s[24:25], -v[50:51]
	v_mul_f64 v[66:67], v[52:53], s[26:27]
	v_add_f64 v[54:55], v[54:55], v[68:69]
	v_fma_f64 v[68:69], s[24:25], v[64:65], v[66:67]
	v_fma_f64 v[66:67], v[64:65], s[24:25], -v[66:67]
	v_add_f64 v[66:67], v[66:67], v[70:71]
	v_mul_f64 v[70:71], v[48:49], s[36:37]
	v_add_f64 v[68:69], v[68:69], v[72:73]
	v_fmac_f64_e32 v[50:51], s[24:25], v[62:63]
	v_fma_f64 v[72:73], v[62:63], s[14:15], -v[70:71]
	v_mul_f64 v[74:75], v[52:53], s[36:37]
	v_fmac_f64_e32 v[70:71], s[14:15], v[62:63]
	v_add_f64 v[50:51], v[50:51], v[76:77]
	v_fma_f64 v[76:77], s[14:15], v[64:65], v[74:75]
	v_add_f64 v[70:71], v[70:71], v[78:79]
	v_fma_f64 v[74:75], v[64:65], s[14:15], -v[74:75]
	v_mul_f64 v[78:79], v[48:49], s[20:21]
	v_add_f64 v[72:73], v[72:73], v[80:81]
	v_add_f64 v[74:75], v[74:75], v[82:83]
	v_fma_f64 v[80:81], v[62:63], s[22:23], -v[78:79]
	v_mul_f64 v[82:83], v[52:53], s[20:21]
	v_fmac_f64_e32 v[78:79], s[22:23], v[62:63]
	v_add_f64 v[80:81], v[80:81], v[86:87]
	v_fma_f64 v[86:87], s[22:23], v[64:65], v[82:83]
	v_add_f64 v[78:79], v[78:79], v[84:85]
	v_fma_f64 v[82:83], v[64:65], s[22:23], -v[82:83]
	v_mul_f64 v[84:85], v[48:49], s[30:31]
	v_add_f64 v[82:83], v[82:83], v[100:101]
	v_fma_f64 v[100:101], v[62:63], s[28:29], -v[84:85]
	v_add_f64 v[128:129], v[100:101], v[106:107]
	v_mul_f64 v[100:101], v[52:53], s[30:31]
	v_add_f64 v[118:119], v[118:119], v[130:131]
	v_add_f64 v[76:77], v[76:77], v[102:103]
	v_fma_f64 v[102:103], s[28:29], v[64:65], v[100:101]
	v_fma_f64 v[100:101], v[64:65], s[28:29], -v[100:101]
	v_mul_f64 v[48:49], v[48:49], s[16:17]
	v_add_f64 v[112:113], v[112:113], v[118:119]
	v_add_f64 v[130:131], v[100:101], v[108:109]
	v_fma_f64 v[100:101], v[62:63], s[0:1], -v[48:49]
	v_mul_f64 v[52:53], v[52:53], s[16:17]
	v_add_f64 v[136:137], v[100:101], v[112:113]
	v_fma_f64 v[100:101], s[0:1], v[64:65], v[52:53]
	v_fma_f64 v[52:53], v[64:65], s[0:1], -v[52:53]
	v_fmac_f64_e32 v[48:49], s[0:1], v[62:63]
	v_add_f64 v[52:53], v[52:53], v[60:61]
	v_add_f64 v[60:61], v[32:33], v[34:35]
	v_add_f64 v[32:33], v[32:33], -v[34:35]
	v_add_f64 v[122:123], v[122:123], v[132:133]
	v_add_f64 v[48:49], v[48:49], v[58:59]
	;; [unrolled: 1-line block ×3, first 2 shown]
	v_mul_f64 v[34:35], v[32:33], s[30:31]
	v_add_f64 v[116:117], v[116:117], v[122:123]
	v_add_f64 v[44:45], v[44:45], -v[46:47]
	v_fma_f64 v[46:47], v[58:59], s[28:29], -v[34:35]
	v_add_f64 v[138:139], v[100:101], v[116:117]
	v_add_f64 v[100:101], v[46:47], v[54:55]
	v_mul_f64 v[46:47], v[44:45], s[30:31]
	v_fmac_f64_e32 v[34:35], s[28:29], v[58:59]
	v_add_f64 v[116:117], v[34:35], v[50:51]
	v_fma_f64 v[34:35], v[60:61], s[28:29], -v[46:47]
	v_add_f64 v[118:119], v[34:35], v[66:67]
	v_mul_f64 v[34:35], v[32:33], s[34:35]
	v_fmac_f64_e32 v[84:85], s[28:29], v[62:63]
	v_fma_f64 v[54:55], s[28:29], v[60:61], v[46:47]
	v_fma_f64 v[46:47], v[58:59], s[22:23], -v[34:35]
	v_add_f64 v[120:121], v[120:121], v[126:127]
	v_add_f64 v[84:85], v[84:85], v[104:105]
	;; [unrolled: 1-line block ×3, first 2 shown]
	v_mul_f64 v[46:47], v[44:45], s[34:35]
	v_fmac_f64_e32 v[34:35], s[22:23], v[58:59]
	v_add_f64 v[114:115], v[114:115], v[120:121]
	v_add_f64 v[120:121], v[34:35], v[70:71]
	v_fma_f64 v[34:35], v[60:61], s[22:23], -v[46:47]
	v_add_f64 v[122:123], v[34:35], v[74:75]
	v_mul_f64 v[34:35], v[32:33], s[26:27]
	v_fma_f64 v[50:51], s[22:23], v[60:61], v[46:47]
	v_fma_f64 v[46:47], v[58:59], s[24:25], -v[34:35]
	v_add_f64 v[108:109], v[46:47], v[80:81]
	v_mul_f64 v[46:47], v[44:45], s[26:27]
	v_fmac_f64_e32 v[34:35], s[24:25], v[58:59]
	v_add_f64 v[124:125], v[34:35], v[78:79]
	v_fma_f64 v[34:35], v[60:61], s[24:25], -v[46:47]
	v_add_f64 v[126:127], v[34:35], v[82:83]
	v_mul_f64 v[34:35], v[32:33], s[16:17]
	v_add_f64 v[106:107], v[50:51], v[76:77]
	v_fma_f64 v[50:51], s[24:25], v[60:61], v[46:47]
	v_fma_f64 v[46:47], v[58:59], s[0:1], -v[34:35]
	v_add_f64 v[112:113], v[46:47], v[128:129]
	v_mul_f64 v[46:47], v[44:45], s[16:17]
	v_fmac_f64_e32 v[34:35], s[0:1], v[58:59]
	v_add_f64 v[132:133], v[34:35], v[84:85]
	v_fma_f64 v[34:35], v[60:61], s[0:1], -v[46:47]
	v_mul_f64 v[32:33], v[32:33], s[18:19]
	v_add_f64 v[134:135], v[34:35], v[130:131]
	v_fma_f64 v[34:35], v[58:59], s[14:15], -v[32:33]
	v_add_f64 v[128:129], v[34:35], v[136:137]
	v_mul_f64 v[34:35], v[44:45], s[18:19]
	v_fmac_f64_e32 v[32:33], s[14:15], v[58:59]
	v_add_f64 v[86:87], v[86:87], v[110:111]
	v_fma_f64 v[44:45], s[14:15], v[60:61], v[34:35]
	v_add_f64 v[136:137], v[32:33], v[48:49]
	v_fma_f64 v[32:33], v[60:61], s[14:15], -v[34:35]
	v_add_f64 v[114:115], v[102:103], v[114:115]
	v_add_f64 v[110:111], v[50:51], v[86:87]
	v_fma_f64 v[50:51], s[0:1], v[60:61], v[46:47]
	v_add_f64 v[130:131], v[44:45], v[138:139]
	v_add_f64 v[138:139], v[32:33], v[52:53]
	v_mul_u32_u24_e32 v32, 0x8f, v56
	v_add_f64 v[102:103], v[54:55], v[68:69]
	v_add_f64 v[114:115], v[50:51], v[114:115]
	v_add_lshl_u32 v50, v32, v57, 4
	ds_write_b128 v50, v[96:99]
	ds_write_b128 v50, v[100:103] offset:208
	ds_write_b128 v50, v[104:107] offset:416
	;; [unrolled: 1-line block ×10, first 2 shown]
	s_waitcnt lgkmcnt(0)
	s_barrier
	s_and_saveexec_b64 s[0:1], s[2:3]
	s_cbranch_execz .LBB0_9
; %bb.8:
	ds_read_b128 v[96:99], v168
	ds_read_b128 v[100:103], v168 offset:2288
	ds_read_b128 v[104:107], v168 offset:4576
	;; [unrolled: 1-line block ×12, first 2 shown]
.LBB0_9:
	s_or_b64 exec, exec, s[0:1]
	v_add_u32_e32 v32, 0xffffff71, v169
	v_cndmask_b32_e64 v32, v32, v169, s[2:3]
	v_mul_hi_i32_i24_e32 v33, 0xc0, v32
	v_mul_i32_i24_e32 v32, 0xc0, v32
	v_lshl_add_u64 v[32:33], s[10:11], 0, v[32:33]
	global_load_dwordx4 v[56:59], v[32:33], off offset:2080
	global_load_dwordx4 v[60:63], v[32:33], off offset:2096
	;; [unrolled: 1-line block ×12, first 2 shown]
	s_mov_b32 s26, 0x42a4c3d2
	s_mov_b32 s36, 0x66966769
	;; [unrolled: 1-line block ×30, first 2 shown]
	s_waitcnt vmcnt(11) lgkmcnt(11)
	v_mul_f64 v[34:35], v[102:103], v[58:59]
	v_mul_f64 v[52:53], v[100:101], v[58:59]
	s_waitcnt vmcnt(10) lgkmcnt(10)
	v_mul_f64 v[44:45], v[106:107], v[62:63]
	v_mul_f64 v[54:55], v[104:105], v[62:63]
	v_fma_f64 v[176:177], v[100:101], v[56:57], -v[34:35]
	v_fmac_f64_e32 v[52:53], v[102:103], v[56:57]
	s_waitcnt vmcnt(9) lgkmcnt(9)
	v_mul_f64 v[150:151], v[110:111], v[66:67]
	v_mul_f64 v[46:47], v[108:109], v[66:67]
	v_fma_f64 v[178:179], v[104:105], v[60:61], -v[44:45]
	v_fmac_f64_e32 v[54:55], v[106:107], v[60:61]
	s_waitcnt vmcnt(1) lgkmcnt(1)
	v_mul_f64 v[170:171], v[92:93], v[78:79]
	s_waitcnt vmcnt(0) lgkmcnt(0)
	v_mul_f64 v[174:175], v[88:89], v[74:75]
	v_mul_f64 v[166:167], v[94:95], v[78:79]
	;; [unrolled: 1-line block ×3, first 2 shown]
	v_fmac_f64_e32 v[170:171], v[94:95], v[76:77]
	v_fmac_f64_e32 v[174:175], v[90:91], v[72:73]
	v_add_f64 v[90:91], v[96:97], v[176:177]
	v_add_f64 v[94:95], v[98:99], v[52:53]
	v_mul_f64 v[152:153], v[114:115], v[70:71]
	v_mul_f64 v[148:149], v[112:113], v[70:71]
	v_fma_f64 v[108:109], v[108:109], v[64:65], -v[150:151]
	v_fmac_f64_e32 v[46:47], v[110:111], v[64:65]
	v_add_f64 v[90:91], v[90:91], v[178:179]
	v_add_f64 v[94:95], v[94:95], v[54:55]
	v_mul_f64 v[154:155], v[130:131], v[182:183]
	v_mul_f64 v[144:145], v[128:129], v[182:183]
	v_fma_f64 v[34:35], v[112:113], v[68:69], -v[152:153]
	;; [unrolled: 6-line block ×7, first 2 shown]
	v_fmac_f64_e32 v[32:33], v[122:123], v[84:85]
	v_add_f64 v[90:91], v[90:91], v[106:107]
	v_add_f64 v[94:95], v[94:95], v[146:147]
	v_fma_f64 v[110:111], v[116:117], v[188:189], -v[164:165]
	v_fmac_f64_e32 v[48:49], v[118:119], v[188:189]
	v_add_f64 v[90:91], v[90:91], v[44:45]
	v_add_f64 v[94:95], v[94:95], v[32:33]
	v_fma_f64 v[92:93], v[92:93], v[76:77], -v[166:167]
	v_fma_f64 v[88:89], v[88:89], v[72:73], -v[172:173]
	v_add_f64 v[114:115], v[52:53], v[174:175]
	v_add_f64 v[52:53], v[52:53], -v[174:175]
	v_add_f64 v[90:91], v[90:91], v[110:111]
	v_add_f64 v[94:95], v[94:95], v[48:49]
	;; [unrolled: 1-line block ×3, first 2 shown]
	v_add_f64 v[116:117], v[176:177], -v[88:89]
	v_mul_f64 v[118:119], v[52:53], s[10:11]
	v_add_f64 v[90:91], v[90:91], v[92:93]
	v_add_f64 v[94:95], v[94:95], v[170:171]
	v_mul_f64 v[124:125], v[52:53], s[26:27]
	v_mul_f64 v[132:133], v[52:53], s[36:37]
	;; [unrolled: 1-line block ×5, first 2 shown]
	v_add_f64 v[88:89], v[90:91], v[88:89]
	v_add_f64 v[90:91], v[94:95], v[174:175]
	v_fma_f64 v[94:95], v[112:113], s[0:1], -v[118:119]
	v_mul_f64 v[120:121], v[116:117], s[10:11]
	v_fmac_f64_e32 v[118:119], s[0:1], v[112:113]
	v_fma_f64 v[126:127], v[112:113], s[16:17], -v[124:125]
	v_mul_f64 v[128:129], v[116:117], s[26:27]
	v_fmac_f64_e32 v[124:125], s[16:17], v[112:113]
	;; [unrolled: 3-line block ×6, first 2 shown]
	v_add_f64 v[94:95], v[96:97], v[94:95]
	v_fma_f64 v[122:123], s[0:1], v[114:115], v[120:121]
	v_add_f64 v[118:119], v[96:97], v[118:119]
	v_fma_f64 v[120:121], v[114:115], s[0:1], -v[120:121]
	v_add_f64 v[126:127], v[96:97], v[126:127]
	v_fma_f64 v[130:131], s[16:17], v[114:115], v[128:129]
	v_add_f64 v[124:125], v[96:97], v[124:125]
	v_fma_f64 v[128:129], v[114:115], s[16:17], -v[128:129]
	;; [unrolled: 4-line block ×6, first 2 shown]
	v_add_f64 v[112:113], v[54:55], v[170:171]
	v_add_f64 v[54:55], v[54:55], -v[170:171]
	v_add_f64 v[122:123], v[98:99], v[122:123]
	v_add_f64 v[120:121], v[98:99], v[120:121]
	;; [unrolled: 1-line block ×13, first 2 shown]
	v_mul_f64 v[114:115], v[54:55], s[26:27]
	v_add_f64 v[92:93], v[178:179], -v[92:93]
	v_fma_f64 v[116:117], v[98:99], s[16:17], -v[114:115]
	v_add_f64 v[94:95], v[116:117], v[94:95]
	v_mul_f64 v[116:117], v[92:93], s[26:27]
	v_fmac_f64_e32 v[114:115], s[16:17], v[98:99]
	v_fma_f64 v[170:171], s[16:17], v[112:113], v[116:117]
	v_add_f64 v[114:115], v[114:115], v[118:119]
	v_fma_f64 v[116:117], v[112:113], s[16:17], -v[116:117]
	v_mul_f64 v[118:119], v[54:55], s[18:19]
	v_add_f64 v[116:117], v[116:117], v[120:121]
	v_fma_f64 v[120:121], v[98:99], s[20:21], -v[118:119]
	v_add_f64 v[120:121], v[120:121], v[126:127]
	v_mul_f64 v[126:127], v[92:93], s[18:19]
	v_fmac_f64_e32 v[118:119], s[20:21], v[98:99]
	v_add_f64 v[122:123], v[170:171], v[122:123]
	v_fma_f64 v[170:171], s[20:21], v[112:113], v[126:127]
	v_add_f64 v[118:119], v[118:119], v[124:125]
	v_fma_f64 v[124:125], v[112:113], s[20:21], -v[126:127]
	v_mul_f64 v[126:127], v[54:55], s[28:29]
	v_add_f64 v[124:125], v[124:125], v[128:129]
	v_fma_f64 v[128:129], v[98:99], s[30:31], -v[126:127]
	v_add_f64 v[128:129], v[128:129], v[134:135]
	v_mul_f64 v[134:135], v[92:93], s[28:29]
	v_fmac_f64_e32 v[126:127], s[30:31], v[98:99]
	v_add_f64 v[130:131], v[170:171], v[130:131]
	;; [unrolled: 10-line block ×3, first 2 shown]
	v_fma_f64 v[170:171], s[24:25], v[112:113], v[152:153]
	v_add_f64 v[134:135], v[134:135], v[150:151]
	v_fma_f64 v[150:151], v[112:113], s[24:25], -v[152:153]
	v_mul_f64 v[152:153], v[54:55], s[34:35]
	v_add_f64 v[150:151], v[150:151], v[154:155]
	v_fma_f64 v[154:155], v[98:99], s[14:15], -v[152:153]
	s_mov_b32 s11, 0x3fddbe06
	v_add_f64 v[154:155], v[154:155], v[160:161]
	v_mul_f64 v[160:161], v[92:93], s[34:35]
	v_fmac_f64_e32 v[152:153], s[14:15], v[98:99]
	v_mul_f64 v[54:55], v[54:55], s[10:11]
	v_add_f64 v[156:157], v[170:171], v[156:157]
	v_fma_f64 v[170:171], s[14:15], v[112:113], v[160:161]
	v_add_f64 v[152:153], v[152:153], v[158:159]
	v_fma_f64 v[158:159], v[112:113], s[14:15], -v[160:161]
	v_fma_f64 v[160:161], v[98:99], s[0:1], -v[54:55]
	v_mul_f64 v[92:93], v[92:93], s[10:11]
	v_fmac_f64_e32 v[54:55], s[0:1], v[98:99]
	v_add_f64 v[52:53], v[54:55], v[52:53]
	v_fma_f64 v[54:55], v[112:113], s[0:1], -v[92:93]
	v_add_f64 v[54:55], v[54:55], v[96:97]
	v_add_f64 v[96:97], v[46:47], v[48:49]
	v_add_f64 v[46:47], v[46:47], -v[48:49]
	v_add_f64 v[158:159], v[158:159], v[162:163]
	v_fma_f64 v[162:163], s[0:1], v[112:113], v[92:93]
	v_add_f64 v[92:93], v[108:109], v[110:111]
	v_mul_f64 v[48:49], v[46:47], s[36:37]
	v_add_f64 v[98:99], v[108:109], -v[110:111]
	v_fma_f64 v[108:109], v[92:93], s[14:15], -v[48:49]
	v_add_f64 v[94:95], v[108:109], v[94:95]
	v_mul_f64 v[108:109], v[98:99], s[36:37]
	v_fmac_f64_e32 v[48:49], s[14:15], v[92:93]
	v_mul_f64 v[112:113], v[46:47], s[28:29]
	v_fma_f64 v[110:111], s[14:15], v[96:97], v[108:109]
	v_add_f64 v[48:49], v[48:49], v[114:115]
	v_fma_f64 v[108:109], v[96:97], s[14:15], -v[108:109]
	v_fma_f64 v[114:115], v[92:93], s[30:31], -v[112:113]
	v_fmac_f64_e32 v[112:113], s[30:31], v[92:93]
	v_add_f64 v[108:109], v[108:109], v[116:117]
	v_mul_f64 v[116:117], v[98:99], s[28:29]
	v_add_f64 v[112:113], v[112:113], v[118:119]
	v_mul_f64 v[118:119], v[46:47], s[40:41]
	v_add_f64 v[110:111], v[110:111], v[122:123]
	v_add_f64 v[114:115], v[114:115], v[120:121]
	v_fma_f64 v[120:121], s[30:31], v[96:97], v[116:117]
	v_fma_f64 v[116:117], v[96:97], s[30:31], -v[116:117]
	v_fma_f64 v[122:123], v[92:93], s[20:21], -v[118:119]
	v_fmac_f64_e32 v[118:119], s[20:21], v[92:93]
	v_add_f64 v[116:117], v[116:117], v[124:125]
	v_mul_f64 v[124:125], v[98:99], s[40:41]
	v_add_f64 v[118:119], v[118:119], v[126:127]
	v_mul_f64 v[126:127], v[46:47], s[10:11]
	v_add_f64 v[120:121], v[120:121], v[130:131]
	v_add_f64 v[122:123], v[122:123], v[128:129]
	v_fma_f64 v[128:129], s[20:21], v[96:97], v[124:125]
	;; [unrolled: 10-line block ×3, first 2 shown]
	v_fma_f64 v[132:133], v[96:97], s[0:1], -v[132:133]
	v_fma_f64 v[138:139], v[92:93], s[16:17], -v[134:135]
	v_fmac_f64_e32 v[134:135], s[16:17], v[92:93]
	v_mul_f64 v[46:47], v[46:47], s[22:23]
	v_add_f64 v[132:133], v[132:133], v[150:151]
	v_mul_f64 v[150:151], v[98:99], s[26:27]
	v_add_f64 v[134:135], v[134:135], v[152:153]
	v_fma_f64 v[152:153], v[92:93], s[24:25], -v[46:47]
	v_mul_f64 v[98:99], v[98:99], s[22:23]
	v_fmac_f64_e32 v[46:47], s[24:25], v[92:93]
	v_add_f64 v[46:47], v[46:47], v[52:53]
	v_fma_f64 v[52:53], v[96:97], s[24:25], -v[98:99]
	v_add_f64 v[92:93], v[148:149], v[32:33]
	v_add_f64 v[32:33], v[148:149], -v[32:33]
	v_add_f64 v[52:53], v[52:53], v[54:55]
	v_add_f64 v[54:55], v[34:35], v[44:45]
	v_add_f64 v[34:35], v[34:35], -v[44:45]
	v_mul_f64 v[44:45], v[32:33], s[18:19]
	v_add_f64 v[136:137], v[136:137], v[156:157]
	v_add_f64 v[138:139], v[138:139], v[154:155]
	v_fma_f64 v[154:155], s[16:17], v[96:97], v[150:151]
	v_fma_f64 v[150:151], v[96:97], s[16:17], -v[150:151]
	v_fma_f64 v[156:157], s[24:25], v[96:97], v[98:99]
	v_fma_f64 v[96:97], v[54:55], s[20:21], -v[44:45]
	v_add_f64 v[94:95], v[96:97], v[94:95]
	v_mul_f64 v[96:97], v[34:35], s[18:19]
	v_fmac_f64_e32 v[44:45], s[20:21], v[54:55]
	v_fma_f64 v[98:99], s[20:21], v[92:93], v[96:97]
	v_add_f64 v[44:45], v[44:45], v[48:49]
	v_fma_f64 v[48:49], v[92:93], s[20:21], -v[96:97]
	v_mul_f64 v[96:97], v[32:33], s[38:39]
	v_add_f64 v[98:99], v[98:99], v[110:111]
	v_add_f64 v[48:49], v[48:49], v[108:109]
	v_fma_f64 v[108:109], v[54:55], s[24:25], -v[96:97]
	v_mul_f64 v[110:111], v[34:35], s[38:39]
	v_fmac_f64_e32 v[96:97], s[24:25], v[54:55]
	v_add_f64 v[108:109], v[108:109], v[114:115]
	v_fma_f64 v[114:115], s[24:25], v[92:93], v[110:111]
	v_add_f64 v[96:97], v[96:97], v[112:113]
	v_fma_f64 v[110:111], v[92:93], s[24:25], -v[110:111]
	v_mul_f64 v[112:113], v[32:33], s[10:11]
	v_add_f64 v[114:115], v[114:115], v[120:121]
	v_add_f64 v[110:111], v[110:111], v[116:117]
	v_fma_f64 v[116:117], v[54:55], s[0:1], -v[112:113]
	v_mul_f64 v[120:121], v[34:35], s[10:11]
	v_fmac_f64_e32 v[112:113], s[0:1], v[54:55]
	v_add_f64 v[116:117], v[116:117], v[122:123]
	v_fma_f64 v[122:123], s[0:1], v[92:93], v[120:121]
	v_add_f64 v[112:113], v[112:113], v[118:119]
	v_fma_f64 v[118:119], v[92:93], s[0:1], -v[120:121]
	v_mul_f64 v[120:121], v[32:33], s[36:37]
	v_add_f64 v[122:123], v[122:123], v[128:129]
	v_add_f64 v[118:119], v[118:119], v[124:125]
	v_fma_f64 v[124:125], v[54:55], s[14:15], -v[120:121]
	v_mul_f64 v[128:129], v[34:35], s[36:37]
	v_fmac_f64_e32 v[120:121], s[14:15], v[54:55]
	s_mov_b32 s39, 0x3fcea1e5
	s_mov_b32 s38, s28
	v_add_f64 v[124:125], v[124:125], v[130:131]
	v_fma_f64 v[130:131], s[14:15], v[92:93], v[128:129]
	v_add_f64 v[120:121], v[120:121], v[126:127]
	v_fma_f64 v[126:127], v[92:93], s[14:15], -v[128:129]
	v_mul_f64 v[128:129], v[32:33], s[38:39]
	s_mov_b32 s37, 0x3fea55e2
	s_mov_b32 s36, s26
	v_add_f64 v[130:131], v[130:131], v[136:137]
	v_add_f64 v[126:127], v[126:127], v[132:133]
	v_fma_f64 v[132:133], v[54:55], s[30:31], -v[128:129]
	v_mul_f64 v[136:137], v[34:35], s[38:39]
	v_fmac_f64_e32 v[128:129], s[30:31], v[54:55]
	v_mul_f64 v[32:33], v[32:33], s[36:37]
	v_mul_f64 v[34:35], v[34:35], s[36:37]
	v_add_f64 v[132:133], v[132:133], v[138:139]
	v_fma_f64 v[138:139], s[30:31], v[92:93], v[136:137]
	v_add_f64 v[128:129], v[128:129], v[134:135]
	v_fma_f64 v[134:135], v[92:93], s[30:31], -v[136:137]
	v_fma_f64 v[136:137], v[54:55], s[16:17], -v[32:33]
	v_fma_f64 v[148:149], s[16:17], v[92:93], v[34:35]
	v_fmac_f64_e32 v[32:33], s[16:17], v[54:55]
	v_fma_f64 v[34:35], v[92:93], s[16:17], -v[34:35]
	v_add_f64 v[92:93], v[144:145], -v[146:147]
	v_add_f64 v[32:33], v[32:33], v[46:47]
	v_add_f64 v[46:47], v[104:105], v[106:107]
	v_add_f64 v[54:55], v[104:105], -v[106:107]
	v_mul_f64 v[104:105], v[92:93], s[22:23]
	v_fma_f64 v[106:107], v[46:47], s[24:25], -v[104:105]
	v_add_f64 v[34:35], v[34:35], v[52:53]
	v_add_f64 v[52:53], v[144:145], v[146:147]
	;; [unrolled: 1-line block ×3, first 2 shown]
	v_mul_f64 v[106:107], v[54:55], s[22:23]
	v_fmac_f64_e32 v[104:105], s[24:25], v[46:47]
	v_add_f64 v[44:45], v[104:105], v[44:45]
	v_fma_f64 v[104:105], v[52:53], s[24:25], -v[106:107]
	v_add_f64 v[48:49], v[104:105], v[48:49]
	v_mul_f64 v[104:105], v[92:93], s[34:35]
	v_fma_f64 v[144:145], s[24:25], v[52:53], v[106:107]
	v_fma_f64 v[106:107], v[46:47], s[14:15], -v[104:105]
	v_add_f64 v[106:107], v[106:107], v[108:109]
	v_mul_f64 v[108:109], v[54:55], s[34:35]
	v_fmac_f64_e32 v[104:105], s[14:15], v[46:47]
	v_add_f64 v[104:105], v[104:105], v[96:97]
	v_fma_f64 v[96:97], v[52:53], s[14:15], -v[108:109]
	v_add_f64 v[98:99], v[144:145], v[98:99]
	v_fma_f64 v[144:145], s[14:15], v[52:53], v[108:109]
	v_add_f64 v[108:109], v[96:97], v[110:111]
	v_mul_f64 v[96:97], v[92:93], s[26:27]
	v_fma_f64 v[110:111], v[46:47], s[16:17], -v[96:97]
	v_add_f64 v[110:111], v[110:111], v[116:117]
	v_mul_f64 v[116:117], v[54:55], s[26:27]
	v_fmac_f64_e32 v[96:97], s[16:17], v[46:47]
	v_add_f64 v[112:113], v[96:97], v[112:113]
	v_fma_f64 v[96:97], v[52:53], s[16:17], -v[116:117]
	v_add_f64 v[146:147], v[96:97], v[118:119]
	v_mul_f64 v[96:97], v[92:93], s[38:39]
	v_add_f64 v[160:161], v[160:161], v[166:167]
	v_add_f64 v[150:151], v[150:151], v[158:159]
	;; [unrolled: 1-line block ×3, first 2 shown]
	v_fma_f64 v[144:145], s[16:17], v[52:53], v[116:117]
	v_fma_f64 v[116:117], v[46:47], s[30:31], -v[96:97]
	v_add_f64 v[164:165], v[170:171], v[164:165]
	v_add_f64 v[152:153], v[152:153], v[160:161]
	;; [unrolled: 1-line block ×4, first 2 shown]
	v_mul_f64 v[116:117], v[54:55], s[38:39]
	v_fmac_f64_e32 v[96:97], s[30:31], v[46:47]
	v_add_f64 v[154:155], v[154:155], v[164:165]
	v_add_f64 v[136:137], v[136:137], v[152:153]
	;; [unrolled: 1-line block ×3, first 2 shown]
	v_fma_f64 v[96:97], v[52:53], s[30:31], -v[116:117]
	v_add_f64 v[138:139], v[138:139], v[154:155]
	v_add_f64 v[154:155], v[96:97], v[126:127]
	v_mul_f64 v[96:97], v[92:93], s[10:11]
	v_add_f64 v[162:163], v[162:163], v[172:173]
	v_fma_f64 v[118:119], s[30:31], v[52:53], v[116:117]
	v_fma_f64 v[116:117], v[46:47], s[0:1], -v[96:97]
	v_add_f64 v[156:157], v[156:157], v[162:163]
	v_add_f64 v[132:133], v[116:117], v[132:133]
	v_mul_f64 v[116:117], v[54:55], s[10:11]
	v_fmac_f64_e32 v[96:97], s[0:1], v[46:47]
	v_add_f64 v[148:149], v[148:149], v[156:157]
	v_add_f64 v[156:157], v[96:97], v[128:129]
	v_fma_f64 v[96:97], v[52:53], s[0:1], -v[116:117]
	v_mul_f64 v[92:93], v[92:93], s[18:19]
	v_add_f64 v[134:135], v[96:97], v[134:135]
	v_fma_f64 v[96:97], v[46:47], s[20:21], -v[92:93]
	v_mul_f64 v[54:55], v[54:55], s[18:19]
	v_add_f64 v[130:131], v[118:119], v[130:131]
	v_fma_f64 v[118:119], s[0:1], v[52:53], v[116:117]
	v_add_f64 v[136:137], v[96:97], v[136:137]
	v_fma_f64 v[96:97], s[20:21], v[52:53], v[54:55]
	v_fmac_f64_e32 v[92:93], s[20:21], v[46:47]
	v_fma_f64 v[46:47], v[52:53], s[20:21], -v[54:55]
	v_add_f64 v[52:53], v[140:141], v[142:143]
	v_add_f64 v[140:141], v[140:141], -v[142:143]
	v_add_f64 v[148:149], v[96:97], v[148:149]
	v_add_f64 v[34:35], v[46:47], v[34:35]
	;; [unrolled: 1-line block ×3, first 2 shown]
	v_add_f64 v[54:55], v[100:101], -v[102:103]
	v_mul_f64 v[96:97], v[140:141], s[28:29]
	v_add_f64 v[32:33], v[92:93], v[32:33]
	v_fma_f64 v[92:93], v[46:47], s[30:31], -v[96:97]
	v_mul_f64 v[100:101], v[54:55], s[28:29]
	v_fmac_f64_e32 v[96:97], s[30:31], v[46:47]
	v_add_f64 v[116:117], v[96:97], v[44:45]
	v_fma_f64 v[44:45], v[52:53], s[30:31], -v[100:101]
	v_add_f64 v[138:139], v[118:119], v[138:139]
	v_add_f64 v[118:119], v[44:45], v[48:49]
	v_mul_f64 v[44:45], v[140:141], s[10:11]
	v_fma_f64 v[48:49], v[46:47], s[0:1], -v[44:45]
	v_add_f64 v[96:97], v[48:49], v[106:107]
	v_mul_f64 v[48:49], v[54:55], s[10:11]
	v_fmac_f64_e32 v[44:45], s[0:1], v[46:47]
	v_add_f64 v[120:121], v[44:45], v[104:105]
	v_fma_f64 v[44:45], v[52:53], s[0:1], -v[48:49]
	v_add_f64 v[144:145], v[144:145], v[122:123]
	v_add_f64 v[92:93], v[92:93], v[94:95]
	v_fma_f64 v[94:95], s[30:31], v[52:53], v[100:101]
	v_add_f64 v[122:123], v[44:45], v[108:109]
	v_mul_f64 v[44:45], v[140:141], s[22:23]
	v_add_f64 v[94:95], v[94:95], v[98:99]
	v_fma_f64 v[98:99], s[0:1], v[52:53], v[48:49]
	v_fma_f64 v[48:49], v[46:47], s[24:25], -v[44:45]
	v_add_f64 v[100:101], v[48:49], v[110:111]
	v_mul_f64 v[48:49], v[54:55], s[22:23]
	v_fmac_f64_e32 v[44:45], s[24:25], v[46:47]
	v_add_f64 v[124:125], v[44:45], v[112:113]
	v_fma_f64 v[44:45], v[52:53], s[24:25], -v[48:49]
	v_add_f64 v[126:127], v[44:45], v[146:147]
	v_mul_f64 v[44:45], v[140:141], s[36:37]
	v_fma_f64 v[102:103], s[24:25], v[52:53], v[48:49]
	v_fma_f64 v[48:49], v[46:47], s[16:17], -v[44:45]
	v_add_f64 v[104:105], v[48:49], v[150:151]
	v_mul_f64 v[48:49], v[54:55], s[36:37]
	v_fmac_f64_e32 v[44:45], s[16:17], v[46:47]
	v_fma_f64 v[106:107], s[16:17], v[52:53], v[48:49]
	v_add_f64 v[128:129], v[44:45], v[152:153]
	v_fma_f64 v[44:45], v[52:53], s[16:17], -v[48:49]
	v_add_f64 v[106:107], v[106:107], v[130:131]
	v_add_f64 v[130:131], v[44:45], v[154:155]
	v_mul_f64 v[44:45], v[140:141], s[18:19]
	v_fma_f64 v[48:49], v[46:47], s[20:21], -v[44:45]
	v_add_f64 v[108:109], v[48:49], v[132:133]
	v_mul_f64 v[48:49], v[54:55], s[18:19]
	v_fmac_f64_e32 v[44:45], s[20:21], v[46:47]
	v_add_f64 v[132:133], v[44:45], v[156:157]
	v_fma_f64 v[44:45], v[52:53], s[20:21], -v[48:49]
	v_add_f64 v[134:135], v[44:45], v[134:135]
	v_mul_f64 v[44:45], v[140:141], s[34:35]
	v_fma_f64 v[110:111], s[20:21], v[52:53], v[48:49]
	v_fma_f64 v[48:49], v[46:47], s[14:15], -v[44:45]
	v_add_f64 v[112:113], v[48:49], v[136:137]
	v_mul_f64 v[48:49], v[54:55], s[34:35]
	v_fmac_f64_e32 v[44:45], s[14:15], v[46:47]
	v_accvgpr_write_b32 a2, v56
	v_accvgpr_write_b32 a6, v60
	;; [unrolled: 1-line block ×10, first 2 shown]
	v_fma_f64 v[54:55], s[14:15], v[52:53], v[48:49]
	v_add_f64 v[136:137], v[44:45], v[32:33]
	v_fma_f64 v[32:33], v[52:53], s[14:15], -v[48:49]
	v_accvgpr_write_b32 a3, v57
	v_accvgpr_write_b32 a4, v58
	v_accvgpr_write_b32 a5, v59
	v_accvgpr_write_b32 a7, v61
	v_accvgpr_write_b32 a8, v62
	v_accvgpr_write_b32 a9, v63
	v_accvgpr_write_b32 a11, v65
	v_accvgpr_write_b32 a12, v66
	v_accvgpr_write_b32 a13, v67
	v_accvgpr_write_b32 a15, v69
	v_accvgpr_write_b32 a16, v70
	v_accvgpr_write_b32 a17, v71
	v_accvgpr_write_b32 a27, v181
	v_accvgpr_write_b32 a28, v182
	v_accvgpr_write_b32 a29, v183
	v_accvgpr_write_b32 a39, v193
	v_accvgpr_write_b32 a40, v194
	v_accvgpr_write_b32 a41, v195
	v_accvgpr_write_b32 a31, v185
	v_accvgpr_write_b32 a32, v186
	v_accvgpr_write_b32 a33, v187
	v_accvgpr_write_b32 a35, v189
	v_accvgpr_write_b32 a36, v190
	v_accvgpr_write_b32 a37, v191
	v_accvgpr_write_b32 a23, v77
	v_accvgpr_write_b32 a24, v78
	v_accvgpr_write_b32 a25, v79
	v_accvgpr_write_b32 a19, v73
	v_accvgpr_write_b32 a20, v74
	v_accvgpr_write_b32 a21, v75
	v_add_f64 v[98:99], v[98:99], v[114:115]
	v_add_f64 v[102:103], v[102:103], v[144:145]
	;; [unrolled: 1-line block ×5, first 2 shown]
	s_and_saveexec_b64 s[0:1], s[2:3]
	s_cbranch_execz .LBB0_11
; %bb.10:
	ds_write_b128 v168, v[88:91]
	ds_write_b128 v168, v[92:95] offset:2288
	ds_write_b128 v168, v[96:99] offset:4576
	;; [unrolled: 1-line block ×12, first 2 shown]
.LBB0_11:
	s_or_b64 exec, exec, s[0:1]
	s_waitcnt lgkmcnt(0)
	s_barrier
	s_and_saveexec_b64 s[0:1], s[2:3]
	s_cbranch_execz .LBB0_13
; %bb.12:
	v_mov_b32_e32 v32, v169
	v_mov_b32_e32 v169, 0
	v_lshl_add_u64 v[164:165], s[12:13], 0, v[168:169]
	v_mov_b32_e32 v169, v32
	v_add_co_u32_e32 v32, vcc, 0x7000, v164
	s_mov_b32 s14, 0x8000
	s_nop 0
	v_addc_co_u32_e32 v33, vcc, 0, v165, vcc
	v_add_co_u32_e32 v34, vcc, s14, v164
	s_mov_b32 s14, 0x9000
	s_nop 0
	v_addc_co_u32_e32 v35, vcc, 0, v165, vcc
	global_load_dwordx4 v[140:143], v[34:35], off offset:1552
	global_load_dwordx4 v[144:147], v[34:35], off offset:3840
	v_add_co_u32_e32 v34, vcc, s14, v164
	s_mov_b32 s14, 0xa000
	s_nop 0
	v_addc_co_u32_e32 v35, vcc, 0, v165, vcc
	global_load_dwordx4 v[148:151], v[34:35], off offset:2032
	v_add_co_u32_e32 v34, vcc, s14, v164
	s_mov_b64 s[10:11], 0x7430
	s_nop 0
	v_addc_co_u32_e32 v35, vcc, 0, v165, vcc
	global_load_dwordx4 v[152:155], v[34:35], off offset:224
	global_load_dwordx4 v[156:159], v[32:33], off offset:1072
	v_lshl_add_u64 v[32:33], v[164:165], 0, s[10:11]
	global_load_dwordx4 v[160:163], v[32:33], off offset:2288
	s_mov_b32 s10, 0xb000
	v_add_co_u32_e32 v48, vcc, s10, v164
	s_mov_b32 s10, 0xc000
	s_nop 0
	v_addc_co_u32_e32 v49, vcc, 0, v165, vcc
	global_load_dwordx4 v[44:47], v[48:49], off offset:704
	global_load_dwordx4 v[170:173], v[48:49], off offset:2992
	v_add_co_u32_e32 v48, vcc, s10, v164
	global_load_dwordx4 v[32:35], v[34:35], off offset:2512
	s_nop 0
	v_addc_co_u32_e32 v49, vcc, 0, v165, vcc
	global_load_dwordx4 v[174:177], v[48:49], off offset:1184
	global_load_dwordx4 v[178:181], v[48:49], off offset:3472
	s_mov_b32 s10, 0xd000
	v_add_co_u32_e32 v48, vcc, s10, v164
	s_nop 1
	v_addc_co_u32_e32 v49, vcc, 0, v165, vcc
	global_load_dwordx4 v[164:167], v[48:49], off offset:1664
	global_load_dwordx4 v[182:185], v[48:49], off offset:3952
	ds_read_b128 v[186:189], v168 offset:4576
	ds_read_b128 v[190:193], v168
	ds_read_b128 v[194:197], v168 offset:2288
	ds_read_b128 v[198:201], v168 offset:6864
	;; [unrolled: 1-line block ×4, first 2 shown]
	s_waitcnt vmcnt(12) lgkmcnt(5)
	v_mul_f64 v[48:49], v[188:189], v[142:143]
	v_mul_f64 v[212:213], v[186:187], v[142:143]
	s_waitcnt vmcnt(11) lgkmcnt(2)
	v_mul_f64 v[52:53], v[200:201], v[146:147]
	v_mul_f64 v[142:143], v[198:199], v[146:147]
	v_fma_f64 v[210:211], v[186:187], v[140:141], -v[48:49]
	v_fmac_f64_e32 v[212:213], v[188:189], v[140:141]
	v_fma_f64 v[140:141], v[198:199], v[144:145], -v[52:53]
	s_waitcnt vmcnt(10) lgkmcnt(1)
	v_mul_f64 v[54:55], v[204:205], v[150:151]
	v_mul_f64 v[146:147], v[202:203], v[150:151]
	v_fmac_f64_e32 v[142:143], v[200:201], v[144:145]
	v_fma_f64 v[144:145], v[202:203], v[148:149], -v[54:55]
	v_fmac_f64_e32 v[146:147], v[204:205], v[148:149]
	s_waitcnt vmcnt(9) lgkmcnt(0)
	v_mul_f64 v[214:215], v[208:209], v[154:155]
	s_waitcnt vmcnt(8)
	v_mul_f64 v[216:217], v[192:193], v[158:159]
	v_mul_f64 v[150:151], v[190:191], v[158:159]
	s_waitcnt vmcnt(7)
	v_mul_f64 v[218:219], v[196:197], v[162:163]
	v_mul_f64 v[158:159], v[194:195], v[162:163]
	v_fma_f64 v[148:149], v[190:191], v[156:157], -v[216:217]
	v_fmac_f64_e32 v[150:151], v[192:193], v[156:157]
	v_fma_f64 v[156:157], v[194:195], v[160:161], -v[218:219]
	v_fmac_f64_e32 v[158:159], v[196:197], v[160:161]
	ds_write_b128 v168, v[210:213] offset:4576
	ds_write_b128 v168, v[140:143] offset:6864
	;; [unrolled: 1-line block ×3, first 2 shown]
	ds_write_b128 v168, v[148:151]
	ds_write_b128 v168, v[156:159] offset:2288
	ds_read_b128 v[140:143], v168 offset:13728
	ds_read_b128 v[144:147], v168 offset:16016
	v_mul_f64 v[188:189], v[206:207], v[154:155]
	v_fma_f64 v[186:187], v[206:207], v[152:153], -v[214:215]
	v_fmac_f64_e32 v[188:189], v[208:209], v[152:153]
	s_waitcnt vmcnt(4) lgkmcnt(1)
	v_mul_f64 v[48:49], v[142:143], v[34:35]
	v_mul_f64 v[150:151], v[140:141], v[34:35]
	v_fma_f64 v[148:149], v[140:141], v[32:33], -v[48:49]
	v_fmac_f64_e32 v[150:151], v[142:143], v[32:33]
	ds_read_b128 v[140:143], v168 offset:18304
	s_waitcnt lgkmcnt(1)
	v_mul_f64 v[32:33], v[146:147], v[46:47]
	v_mul_f64 v[34:35], v[144:145], v[46:47]
	v_fma_f64 v[32:33], v[144:145], v[44:45], -v[32:33]
	v_fmac_f64_e32 v[34:35], v[146:147], v[44:45]
	ds_write_b128 v168, v[32:35] offset:16016
	ds_read_b128 v[32:35], v168 offset:20592
	s_waitcnt lgkmcnt(2)
	v_mul_f64 v[44:45], v[142:143], v[172:173]
	v_mul_f64 v[46:47], v[140:141], v[172:173]
	v_fma_f64 v[44:45], v[140:141], v[170:171], -v[44:45]
	v_fmac_f64_e32 v[46:47], v[142:143], v[170:171]
	ds_read_b128 v[140:143], v168 offset:22880
	ds_write_b128 v168, v[44:47] offset:18304
	s_waitcnt vmcnt(3) lgkmcnt(2)
	v_mul_f64 v[44:45], v[34:35], v[176:177]
	v_mul_f64 v[46:47], v[32:33], v[176:177]
	v_fma_f64 v[44:45], v[32:33], v[174:175], -v[44:45]
	v_fmac_f64_e32 v[46:47], v[34:35], v[174:175]
	ds_read_b128 v[32:35], v168 offset:25168
	ds_write_b128 v168, v[44:47] offset:20592
	s_waitcnt vmcnt(2) lgkmcnt(3)
	v_mul_f64 v[44:45], v[142:143], v[180:181]
	v_mul_f64 v[46:47], v[140:141], v[180:181]
	v_fma_f64 v[44:45], v[140:141], v[178:179], -v[44:45]
	v_fmac_f64_e32 v[46:47], v[142:143], v[178:179]
	ds_write_b128 v168, v[44:47] offset:22880
	ds_read_b128 v[44:47], v168 offset:27456
	s_waitcnt vmcnt(1) lgkmcnt(3)
	v_mul_f64 v[48:49], v[34:35], v[166:167]
	v_mul_f64 v[142:143], v[32:33], v[166:167]
	v_fma_f64 v[140:141], v[32:33], v[164:165], -v[48:49]
	v_fmac_f64_e32 v[142:143], v[34:35], v[164:165]
	s_waitcnt vmcnt(0) lgkmcnt(0)
	v_mul_f64 v[32:33], v[46:47], v[184:185]
	v_mul_f64 v[34:35], v[44:45], v[184:185]
	v_fma_f64 v[32:33], v[44:45], v[182:183], -v[32:33]
	v_fmac_f64_e32 v[34:35], v[46:47], v[182:183]
	ds_write_b128 v168, v[186:189] offset:11440
	ds_write_b128 v168, v[148:151] offset:13728
	ds_write_b128 v168, v[140:143] offset:25168
	ds_write_b128 v168, v[32:35] offset:27456
.LBB0_13:
	s_or_b64 exec, exec, s[0:1]
	s_waitcnt lgkmcnt(0)
	s_barrier
	s_and_saveexec_b64 s[0:1], s[2:3]
	s_cbranch_execz .LBB0_15
; %bb.14:
	ds_read_b128 v[88:91], v168
	ds_read_b128 v[92:95], v168 offset:2288
	ds_read_b128 v[96:99], v168 offset:4576
	;; [unrolled: 1-line block ×12, first 2 shown]
.LBB0_15:
	s_or_b64 exec, exec, s[0:1]
	s_mov_b32 s40, 0x4267c47c
	s_waitcnt lgkmcnt(0)
	v_add_f64 v[194:195], v[94:95], -v[118:119]
	s_mov_b32 s10, 0xe00740e9
	s_mov_b32 s41, 0xbfddbe06
	;; [unrolled: 1-line block ×3, first 2 shown]
	v_add_f64 v[178:179], v[92:93], v[116:117]
	v_add_f64 v[186:187], v[94:95], v[118:119]
	s_mov_b32 s11, 0x3fec55a7
	v_mul_f64 v[56:57], v[194:195], s[40:41]
	s_mov_b32 s14, 0x1ea71119
	s_mov_b32 s19, 0xbfea55e2
	v_add_f64 v[212:213], v[98:99], -v[122:123]
	v_add_f64 v[202:203], v[92:93], -v[116:117]
	v_mul_f64 v[174:175], v[186:187], s[10:11]
	v_fma_f64 v[32:33], v[178:179], s[10:11], -v[56:57]
	s_mov_b32 s15, 0x3fe22d96
	v_add_f64 v[196:197], v[96:97], v[120:121]
	v_add_f64 v[204:205], v[98:99], v[122:123]
	v_mul_f64 v[176:177], v[212:213], s[18:19]
	v_add_f64 v[32:33], v[88:89], v[32:33]
	v_fma_f64 v[34:35], s[40:41], v[202:203], v[174:175]
	v_mul_f64 v[182:183], v[194:195], s[18:19]
	v_add_f64 v[224:225], v[96:97], -v[120:121]
	v_mul_f64 v[180:181], v[204:205], s[14:15]
	v_fma_f64 v[48:49], v[196:197], s[14:15], -v[176:177]
	s_mov_b32 s16, 0xb2365da1
	s_mov_b32 s25, 0xbfedeba7
	;; [unrolled: 1-line block ×3, first 2 shown]
	v_add_f64 v[34:35], v[90:91], v[34:35]
	v_mul_f64 v[184:185], v[186:187], s[14:15]
	v_fma_f64 v[44:45], v[178:179], s[14:15], -v[182:183]
	v_add_f64 v[32:33], v[48:49], v[32:33]
	v_fma_f64 v[48:49], s[18:19], v[224:225], v[180:181]
	s_mov_b32 s17, 0xbfd6b1d8
	v_mul_f64 v[190:191], v[212:213], s[24:25]
	s_mov_b32 s26, 0x66966769
	v_add_f64 v[44:45], v[88:89], v[44:45]
	v_fma_f64 v[46:47], s[18:19], v[202:203], v[184:185]
	v_add_f64 v[34:35], v[48:49], v[34:35]
	v_mul_f64 v[198:199], v[204:205], s[16:17]
	v_fma_f64 v[48:49], v[196:197], s[16:17], -v[190:191]
	v_add_f64 v[228:229], v[102:103], -v[126:127]
	s_mov_b32 s20, 0xebaa3ed8
	s_mov_b32 s27, 0xbfefc445
	v_add_f64 v[46:47], v[90:91], v[46:47]
	v_add_f64 v[44:45], v[48:49], v[44:45]
	v_fma_f64 v[48:49], s[24:25], v[224:225], v[198:199]
	v_add_f64 v[208:209], v[100:101], v[124:125]
	v_add_f64 v[218:219], v[102:103], v[126:127]
	s_mov_b32 s21, 0x3fbedb7d
	v_mul_f64 v[188:189], v[228:229], s[26:27]
	s_mov_b32 s30, 0x4bc48dbf
	v_add_f64 v[46:47], v[48:49], v[46:47]
	v_add_f64 v[244:245], v[100:101], -v[124:125]
	v_mul_f64 v[192:193], v[218:219], s[20:21]
	v_fma_f64 v[48:49], v[208:209], s[20:21], -v[188:189]
	s_mov_b32 s22, 0x93053d00
	s_mov_b32 s31, 0xbfcea1e5
	v_add_f64 v[32:33], v[48:49], v[32:33]
	v_fma_f64 v[48:49], s[26:27], v[244:245], v[192:193]
	s_mov_b32 s23, 0xbfef11f4
	v_mul_f64 v[210:211], v[228:229], s[30:31]
	v_add_f64 v[34:35], v[48:49], v[34:35]
	v_mul_f64 v[216:217], v[218:219], s[22:23]
	v_fma_f64 v[48:49], v[208:209], s[22:23], -v[210:211]
	v_add_f64 v[246:247], v[106:107], -v[130:131]
	v_add_f64 v[44:45], v[48:49], v[44:45]
	v_fma_f64 v[48:49], s[30:31], v[244:245], v[216:217]
	v_add_f64 v[230:231], v[104:105], v[128:129]
	v_add_f64 v[240:241], v[106:107], v[130:131]
	v_mul_f64 v[200:201], v[246:247], s[24:25]
	s_mov_b32 s38, 0x24c2f84
	v_add_f64 v[46:47], v[48:49], v[46:47]
	v_add_f64 v[242:243], v[104:105], -v[128:129]
	v_mul_f64 v[206:207], v[240:241], s[16:17]
	v_fma_f64 v[48:49], v[230:231], s[16:17], -v[200:201]
	s_mov_b32 s28, 0xd0032e0c
	s_mov_b32 s39, 0x3fe5384d
	v_add_f64 v[48:49], v[48:49], v[32:33]
	v_fma_f64 v[32:33], s[24:25], v[242:243], v[206:207]
	s_mov_b32 s29, 0xbfe7f3cc
	v_mul_f64 v[220:221], v[246:247], s[38:39]
	v_add_f64 v[34:35], v[32:33], v[34:35]
	v_mul_f64 v[232:233], v[240:241], s[28:29]
	v_fma_f64 v[32:33], v[230:231], s[28:29], -v[220:221]
	v_add_f64 v[52:53], v[32:33], v[44:45]
	v_fma_f64 v[32:33], s[38:39], v[242:243], v[232:233]
	v_add_f64 v[46:47], v[32:33], v[46:47]
	v_add_f64 v[32:33], v[110:111], -v[134:135]
	s_mov_b32 s35, 0xbfe5384d
	s_mov_b32 s34, s38
	v_add_f64 v[250:251], v[108:109], v[132:133]
	v_add_f64 v[254:255], v[110:111], v[134:135]
	v_mul_f64 v[214:215], v[32:33], s[34:35]
	v_add_f64 v[44:45], v[108:109], -v[132:133]
	v_mul_f64 v[222:223], v[254:255], s[28:29]
	v_fma_f64 v[54:55], v[250:251], s[28:29], -v[214:215]
	s_mov_b32 s42, s26
	v_add_f64 v[54:55], v[54:55], v[48:49]
	v_fma_f64 v[48:49], s[34:35], v[44:45], v[222:223]
	v_mul_f64 v[236:237], v[32:33], s[42:43]
	v_add_f64 v[142:143], v[48:49], v[34:35]
	v_mul_f64 v[248:249], v[254:255], s[20:21]
	v_fma_f64 v[34:35], v[250:251], s[20:21], -v[236:237]
	v_add_f64 v[52:53], v[34:35], v[52:53]
	v_fma_f64 v[34:35], s[42:43], v[44:45], v[248:249]
	v_add_f64 v[146:147], v[34:35], v[46:47]
	v_add_f64 v[46:47], v[114:115], -v[138:139]
	v_add_f64 v[238:239], v[112:113], v[136:137]
	v_add_f64 v[34:35], v[114:115], v[138:139]
	v_mul_f64 v[226:227], v[46:47], s[30:31]
	v_add_f64 v[48:49], v[112:113], -v[136:137]
	v_mul_f64 v[234:235], v[34:35], s[22:23]
	v_fma_f64 v[140:141], v[238:239], s[22:23], -v[226:227]
	s_mov_b32 s37, 0x3fddbe06
	s_mov_b32 s36, s40
	v_add_f64 v[140:141], v[140:141], v[54:55]
	v_fma_f64 v[54:55], s[30:31], v[48:49], v[234:235]
	v_mul_f64 v[170:171], v[46:47], s[36:37]
	v_add_f64 v[142:143], v[54:55], v[142:143]
	v_mul_f64 v[252:253], v[34:35], s[10:11]
	v_fma_f64 v[54:55], v[238:239], s[10:11], -v[170:171]
	v_add_f64 v[144:145], v[54:55], v[52:53]
	v_fma_f64 v[52:53], s[36:37], v[48:49], v[252:253]
	v_add_f64 v[146:147], v[52:53], v[146:147]
	s_barrier
	s_and_saveexec_b64 s[0:1], s[2:3]
	s_cbranch_execz .LBB0_17
; %bb.16:
	v_mul_f64 v[52:53], v[178:179], s[10:11]
	v_accvgpr_write_b32 a42, v52
	v_accvgpr_write_b32 a43, v53
	v_mul_f64 v[52:53], v[202:203], s[40:41]
	v_accvgpr_write_b32 a48, v52
	v_accvgpr_write_b32 a49, v53
	;; [unrolled: 3-line block ×17, first 2 shown]
	v_mul_f64 v[52:53], v[44:45], s[34:35]
	v_accvgpr_write_b32 a65, v53
	v_mul_f64 v[164:165], v[202:203], s[30:31]
	v_accvgpr_write_b32 a64, v52
	v_mul_f64 v[52:53], v[250:251], s[20:21]
	v_mul_f64 v[160:161], v[224:225], s[36:37]
	v_fma_f64 v[166:167], s[22:23], v[186:187], v[164:165]
	v_accvgpr_write_b32 a75, v53
	s_mov_b32 s41, 0x3fea55e2
	s_mov_b32 s40, s18
	v_mul_f64 v[156:157], v[244:245], s[34:35]
	v_fma_f64 v[162:163], s[10:11], v[204:205], v[160:161]
	v_add_f64 v[166:167], v[90:91], v[166:167]
	v_mul_f64 v[66:67], v[194:195], s[30:31]
	v_accvgpr_write_b32 a74, v52
	v_mul_f64 v[52:53], v[44:45], s[42:43]
	v_mul_f64 v[154:155], v[242:243], s[40:41]
	v_fma_f64 v[158:159], s[28:29], v[218:219], v[156:157]
	v_add_f64 v[162:163], v[162:163], v[166:167]
	v_mul_f64 v[62:63], v[212:213], s[36:37]
	v_fma_f64 v[68:69], v[178:179], s[22:23], -v[66:67]
	v_accvgpr_write_b32 a83, v53
	v_mul_f64 v[152:153], v[44:45], s[24:25]
	v_fma_f64 v[150:151], s[14:15], v[240:241], v[154:155]
	v_add_f64 v[158:159], v[158:159], v[162:163]
	v_mul_f64 v[58:59], v[228:229], s[34:35]
	v_fma_f64 v[64:65], v[196:197], s[10:11], -v[62:63]
	v_add_f64 v[68:69], v[88:89], v[68:69]
	v_accvgpr_write_b32 a82, v52
	v_mul_f64 v[52:53], v[48:49], s[42:43]
	v_fma_f64 v[148:149], s[16:17], v[254:255], v[152:153]
	v_add_f64 v[150:151], v[150:151], v[158:159]
	v_mul_f64 v[166:167], v[246:247], s[40:41]
	v_accvgpr_write_b32 a77, v57
	v_fma_f64 v[60:61], v[208:209], s[28:29], -v[58:59]
	v_add_f64 v[64:65], v[64:65], v[68:69]
	v_fma_f64 v[70:71], v[186:187], s[22:23], -v[164:165]
	v_fma_f64 v[54:55], s[20:21], v[34:35], v[52:53]
	v_add_f64 v[148:149], v[148:149], v[150:151]
	v_mul_f64 v[158:159], v[32:33], s[24:25]
	v_accvgpr_write_b32 a76, v56
	v_fma_f64 v[56:57], v[230:231], s[14:15], -v[166:167]
	v_add_f64 v[60:61], v[60:61], v[64:65]
	v_fma_f64 v[68:69], v[204:205], s[10:11], -v[160:161]
	v_add_f64 v[70:71], v[90:91], v[70:71]
	v_add_f64 v[150:151], v[54:55], v[148:149]
	v_mul_f64 v[54:55], v[46:47], s[42:43]
	v_fma_f64 v[162:163], v[250:251], s[16:17], -v[158:159]
	v_add_f64 v[56:57], v[56:57], v[60:61]
	v_fma_f64 v[64:65], v[218:219], s[28:29], -v[156:157]
	v_add_f64 v[68:69], v[68:69], v[70:71]
	;; [unrolled: 2-line block ×4, first 2 shown]
	v_add_f64 v[148:149], v[148:149], v[56:57]
	v_fma_f64 v[56:57], v[254:255], s[16:17], -v[152:153]
	v_add_f64 v[60:61], v[60:61], v[64:65]
	v_fma_f64 v[52:53], v[34:35], s[20:21], -v[52:53]
	v_add_f64 v[56:57], v[56:57], v[60:61]
	v_fmac_f64_e32 v[66:67], s[22:23], v[178:179]
	v_add_f64 v[154:155], v[52:53], v[56:57]
	v_fmac_f64_e32 v[62:63], s[10:11], v[196:197]
	v_add_f64 v[52:53], v[88:89], v[66:67]
	v_mul_f64 v[160:161], v[202:203], s[34:35]
	v_fmac_f64_e32 v[58:59], s[28:29], v[208:209]
	v_add_f64 v[52:53], v[62:63], v[52:53]
	v_mul_f64 v[68:69], v[224:225], s[42:43]
	v_fma_f64 v[156:157], s[28:29], v[186:187], v[160:161]
	v_fmac_f64_e32 v[166:167], s[14:15], v[230:231]
	v_add_f64 v[52:53], v[58:59], v[52:53]
	s_mov_b32 s45, 0x3fcea1e5
	s_mov_b32 s44, s30
	v_mul_f64 v[64:65], v[244:245], s[18:19]
	v_fma_f64 v[70:71], s[20:21], v[204:205], v[68:69]
	v_add_f64 v[156:157], v[90:91], v[156:157]
	v_mul_f64 v[72:73], v[194:195], s[34:35]
	v_fmac_f64_e32 v[158:159], s[16:17], v[250:251]
	v_add_f64 v[52:53], v[166:167], v[52:53]
	v_mul_f64 v[60:61], v[242:243], s[44:45]
	v_fma_f64 v[66:67], s[14:15], v[218:219], v[64:65]
	v_add_f64 v[70:71], v[70:71], v[156:157]
	v_mul_f64 v[166:167], v[212:213], s[42:43]
	v_fma_f64 v[74:75], v[178:179], s[28:29], -v[72:73]
	v_fmac_f64_e32 v[54:55], s[20:21], v[238:239]
	v_add_f64 v[52:53], v[158:159], v[52:53]
	v_mul_f64 v[56:57], v[44:45], s[36:37]
	v_fma_f64 v[62:63], s[22:23], v[240:241], v[60:61]
	v_add_f64 v[66:67], v[66:67], v[70:71]
	v_mul_f64 v[164:165], v[228:229], s[18:19]
	v_fma_f64 v[172:173], v[196:197], s[20:21], -v[166:167]
	v_add_f64 v[74:75], v[88:89], v[74:75]
	v_add_f64 v[152:153], v[54:55], v[52:53]
	v_mul_f64 v[52:53], v[48:49], s[24:25]
	v_fma_f64 v[58:59], s[10:11], v[254:255], v[56:57]
	v_add_f64 v[62:63], v[62:63], v[66:67]
	v_mul_f64 v[70:71], v[246:247], s[44:45]
	v_fma_f64 v[162:163], v[208:209], s[14:15], -v[164:165]
	v_add_f64 v[74:75], v[172:173], v[74:75]
	v_fma_f64 v[54:55], s[16:17], v[34:35], v[52:53]
	v_add_f64 v[58:59], v[58:59], v[62:63]
	v_mul_f64 v[62:63], v[32:33], s[36:37]
	v_fma_f64 v[156:157], v[230:231], s[22:23], -v[70:71]
	v_add_f64 v[74:75], v[162:163], v[74:75]
	v_add_f64 v[158:159], v[54:55], v[58:59]
	v_mul_f64 v[54:55], v[46:47], s[24:25]
	v_fma_f64 v[66:67], v[250:251], s[10:11], -v[62:63]
	v_add_f64 v[74:75], v[156:157], v[74:75]
	v_fma_f64 v[58:59], v[238:239], s[16:17], -v[54:55]
	v_add_f64 v[66:67], v[66:67], v[74:75]
	v_add_f64 v[156:157], v[58:59], v[66:67]
	v_fma_f64 v[66:67], v[186:187], s[28:29], -v[160:161]
	v_fma_f64 v[58:59], v[240:241], s[22:23], -v[60:61]
	;; [unrolled: 1-line block ×4, first 2 shown]
	v_add_f64 v[66:67], v[90:91], v[66:67]
	v_add_f64 v[64:65], v[64:65], v[66:67]
	;; [unrolled: 1-line block ×3, first 2 shown]
	v_fma_f64 v[56:57], v[254:255], s[10:11], -v[56:57]
	v_add_f64 v[58:59], v[58:59], v[60:61]
	v_fma_f64 v[52:53], v[34:35], s[16:17], -v[52:53]
	v_add_f64 v[56:57], v[56:57], v[58:59]
	v_fmac_f64_e32 v[72:73], s[28:29], v[178:179]
	v_add_f64 v[162:163], v[52:53], v[56:57]
	v_fmac_f64_e32 v[166:167], s[20:21], v[196:197]
	;; [unrolled: 2-line block ×3, first 2 shown]
	v_add_f64 v[52:53], v[166:167], v[52:53]
	v_mul_f64 v[72:73], v[202:203], s[24:25]
	v_fmac_f64_e32 v[70:71], s[22:23], v[230:231]
	v_add_f64 v[52:53], v[164:165], v[52:53]
	v_mul_f64 v[68:69], v[224:225], s[38:39]
	v_fma_f64 v[74:75], s[16:17], v[186:187], v[72:73]
	v_add_f64 v[52:53], v[70:71], v[52:53]
	v_mul_f64 v[64:65], v[244:245], s[36:37]
	v_fma_f64 v[70:71], s[28:29], v[204:205], v[68:69]
	v_add_f64 v[74:75], v[90:91], v[74:75]
	v_fmac_f64_e32 v[62:63], s[10:11], v[250:251]
	v_mul_f64 v[60:61], v[242:243], s[26:27]
	v_fma_f64 v[66:67], s[10:11], v[218:219], v[64:65]
	v_add_f64 v[70:71], v[70:71], v[74:75]
	v_fmac_f64_e32 v[54:55], s[16:17], v[238:239]
	v_add_f64 v[52:53], v[62:63], v[52:53]
	v_mul_f64 v[56:57], v[44:45], s[44:45]
	v_fma_f64 v[62:63], s[20:21], v[240:241], v[60:61]
	v_add_f64 v[66:67], v[66:67], v[70:71]
	v_add_f64 v[160:161], v[54:55], v[52:53]
	v_mul_f64 v[52:53], v[48:49], s[40:41]
	v_fma_f64 v[58:59], s[22:23], v[254:255], v[56:57]
	v_add_f64 v[62:63], v[62:63], v[66:67]
	v_mul_f64 v[172:173], v[194:195], s[24:25]
	v_fma_f64 v[54:55], s[14:15], v[34:35], v[52:53]
	v_add_f64 v[58:59], v[58:59], v[62:63]
	v_mul_f64 v[74:75], v[212:213], s[38:39]
	v_fma_f64 v[164:165], v[178:179], s[16:17], -v[172:173]
	v_add_f64 v[166:167], v[54:55], v[58:59]
	v_mul_f64 v[70:71], v[228:229], s[36:37]
	v_fma_f64 v[54:55], v[196:197], s[28:29], -v[74:75]
	v_add_f64 v[164:165], v[88:89], v[164:165]
	v_mul_f64 v[66:67], v[246:247], s[26:27]
	v_add_f64 v[54:55], v[54:55], v[164:165]
	v_fma_f64 v[164:165], v[208:209], s[10:11], -v[70:71]
	v_mul_f64 v[62:63], v[32:33], s[44:45]
	v_add_f64 v[54:55], v[164:165], v[54:55]
	v_fma_f64 v[164:165], v[230:231], s[20:21], -v[66:67]
	;; [unrolled: 3-line block ×3, first 2 shown]
	v_add_f64 v[54:55], v[164:165], v[54:55]
	v_fma_f64 v[164:165], v[238:239], s[14:15], -v[58:59]
	v_add_f64 v[164:165], v[164:165], v[54:55]
	v_fma_f64 v[54:55], v[204:205], s[28:29], -v[68:69]
	v_fma_f64 v[68:69], v[186:187], s[16:17], -v[72:73]
	v_add_f64 v[68:69], v[90:91], v[68:69]
	v_add_f64 v[54:55], v[54:55], v[68:69]
	v_fma_f64 v[64:65], v[218:219], s[10:11], -v[64:65]
	v_add_f64 v[54:55], v[64:65], v[54:55]
	v_fma_f64 v[60:61], v[240:241], s[20:21], -v[60:61]
	v_fma_f64 v[56:57], v[254:255], s[22:23], -v[56:57]
	v_add_f64 v[54:55], v[60:61], v[54:55]
	v_fma_f64 v[52:53], v[34:35], s[14:15], -v[52:53]
	v_add_f64 v[54:55], v[56:57], v[54:55]
	v_fmac_f64_e32 v[172:173], s[16:17], v[178:179]
	v_add_f64 v[54:55], v[52:53], v[54:55]
	v_fmac_f64_e32 v[74:75], s[28:29], v[196:197]
	;; [unrolled: 2-line block ×3, first 2 shown]
	v_add_f64 v[52:53], v[74:75], v[52:53]
	v_mul_f64 v[172:173], v[202:203], s[26:27]
	v_fmac_f64_e32 v[66:67], s[20:21], v[230:231]
	v_add_f64 v[52:53], v[70:71], v[52:53]
	s_mov_b32 s25, 0x3fedeba7
	v_mul_f64 v[72:73], v[224:225], s[30:31]
	v_fma_f64 v[202:203], s[20:21], v[186:187], v[172:173]
	v_add_f64 v[52:53], v[66:67], v[52:53]
	v_mul_f64 v[66:67], v[244:245], s[24:25]
	v_fma_f64 v[74:75], s[22:23], v[204:205], v[72:73]
	v_add_f64 v[202:203], v[90:91], v[202:203]
	v_mul_f64 v[194:195], v[194:195], s[26:27]
	v_fmac_f64_e32 v[62:63], s[22:23], v[250:251]
	v_mul_f64 v[60:61], v[242:243], s[36:37]
	v_fma_f64 v[70:71], s[16:17], v[218:219], v[66:67]
	v_add_f64 v[74:75], v[74:75], v[202:203]
	v_mul_f64 v[212:213], v[212:213], s[30:31]
	v_fma_f64 v[242:243], v[178:179], s[20:21], -v[194:195]
	v_fmac_f64_e32 v[58:59], s[14:15], v[238:239]
	v_add_f64 v[52:53], v[62:63], v[52:53]
	v_mul_f64 v[44:45], v[44:45], s[18:19]
	v_fma_f64 v[62:63], s[10:11], v[240:241], v[60:61]
	v_add_f64 v[70:71], v[70:71], v[74:75]
	v_mul_f64 v[202:203], v[228:229], s[24:25]
	v_fma_f64 v[228:229], v[196:197], s[22:23], -v[212:213]
	v_add_f64 v[242:243], v[88:89], v[242:243]
	v_add_f64 v[52:53], v[58:59], v[52:53]
	v_mul_f64 v[56:57], v[48:49], s[34:35]
	v_fma_f64 v[58:59], s[14:15], v[254:255], v[44:45]
	v_add_f64 v[62:63], v[62:63], v[70:71]
	v_mul_f64 v[70:71], v[246:247], s[36:37]
	v_fma_f64 v[224:225], v[208:209], s[16:17], -v[202:203]
	v_add_f64 v[228:229], v[228:229], v[242:243]
	v_mul_f64 v[78:79], v[48:49], s[30:31]
	v_mul_f64 v[64:65], v[48:49], s[36:37]
	v_fma_f64 v[48:49], s[28:29], v[34:35], v[56:57]
	v_add_f64 v[58:59], v[58:59], v[62:63]
	v_mul_f64 v[32:33], v[32:33], s[18:19]
	v_fma_f64 v[74:75], v[230:231], s[10:11], -v[70:71]
	v_add_f64 v[224:225], v[224:225], v[228:229]
	v_add_f64 v[48:49], v[48:49], v[58:59]
	v_mul_f64 v[58:59], v[46:47], s[34:35]
	v_fma_f64 v[62:63], v[250:251], s[14:15], -v[32:33]
	v_add_f64 v[74:75], v[74:75], v[224:225]
	v_fma_f64 v[46:47], v[238:239], s[28:29], -v[58:59]
	v_add_f64 v[62:63], v[62:63], v[74:75]
	v_fma_f64 v[34:35], v[34:35], s[28:29], -v[56:57]
	v_fma_f64 v[56:57], v[240:241], s[10:11], -v[60:61]
	;; [unrolled: 1-line block ×4, first 2 shown]
	v_add_f64 v[46:47], v[46:47], v[62:63]
	v_fma_f64 v[62:63], v[204:205], s[22:23], -v[72:73]
	v_add_f64 v[66:67], v[90:91], v[66:67]
	v_add_f64 v[62:63], v[62:63], v[66:67]
	;; [unrolled: 1-line block ×3, first 2 shown]
	v_fma_f64 v[44:45], v[254:255], s[14:15], -v[44:45]
	v_add_f64 v[56:57], v[56:57], v[60:61]
	v_add_f64 v[44:45], v[44:45], v[56:57]
	v_fmac_f64_e32 v[194:195], s[20:21], v[178:179]
	v_add_f64 v[34:35], v[34:35], v[44:45]
	v_fmac_f64_e32 v[212:213], s[22:23], v[196:197]
	;; [unrolled: 2-line block ×5, first 2 shown]
	v_add_f64 v[44:45], v[70:71], v[44:45]
	v_add_f64 v[32:33], v[32:33], v[44:45]
	v_add_f64 v[44:45], v[252:253], -v[64:65]
	v_accvgpr_read_b32 v64, a68
	v_accvgpr_read_b32 v62, a72
	;; [unrolled: 1-line block ×3, first 2 shown]
	v_fmac_f64_e32 v[58:59], s[28:29], v[238:239]
	v_accvgpr_read_b32 v60, a78
	v_accvgpr_read_b32 v63, a73
	v_add_f64 v[64:65], v[184:185], -v[64:65]
	v_add_f64 v[32:33], v[58:59], v[32:33]
	v_accvgpr_read_b32 v58, a80
	v_accvgpr_read_b32 v61, a79
	v_add_f64 v[62:63], v[198:199], -v[62:63]
	v_add_f64 v[64:65], v[90:91], v[64:65]
	;; [unrolled: 4-line block ×5, first 2 shown]
	v_accvgpr_read_b32 v60, a66
	v_accvgpr_read_b32 v63, a63
	v_add_f64 v[64:65], v[64:65], v[182:183]
	v_add_f64 v[56:57], v[56:57], v[58:59]
	v_accvgpr_read_b32 v58, a70
	v_accvgpr_read_b32 v61, a67
	v_add_f64 v[62:63], v[62:63], v[190:191]
	v_add_f64 v[64:65], v[88:89], v[64:65]
	;; [unrolled: 1-line block ×3, first 2 shown]
	v_accvgpr_read_b32 v56, a74
	v_accvgpr_read_b32 v59, a71
	v_add_f64 v[60:61], v[60:61], v[210:211]
	v_add_f64 v[62:63], v[62:63], v[64:65]
	v_accvgpr_read_b32 v65, a49
	v_accvgpr_read_b32 v57, a75
	v_add_f64 v[58:59], v[58:59], v[220:221]
	v_add_f64 v[60:61], v[60:61], v[62:63]
	v_accvgpr_read_b32 v63, a53
	v_accvgpr_read_b32 v64, a48
	v_mul_f64 v[68:69], v[238:239], s[10:11]
	v_add_f64 v[56:57], v[56:57], v[236:237]
	v_add_f64 v[58:59], v[58:59], v[60:61]
	v_accvgpr_read_b32 v61, a57
	v_accvgpr_read_b32 v62, a52
	v_add_f64 v[64:65], v[174:175], -v[64:65]
	v_add_f64 v[44:45], v[68:69], v[170:171]
	v_add_f64 v[56:57], v[56:57], v[58:59]
	v_accvgpr_read_b32 v58, a60
	v_accvgpr_read_b32 v60, a56
	v_add_f64 v[62:63], v[180:181], -v[62:63]
	;; [unrolled: 5-line block ×3, first 2 shown]
	v_add_f64 v[62:63], v[62:63], v[64:65]
	v_accvgpr_read_b32 v65, a43
	v_accvgpr_read_b32 v66, a76
	;; [unrolled: 1-line block ×3, first 2 shown]
	v_add_f64 v[58:59], v[206:207], -v[58:59]
	v_add_f64 v[60:61], v[60:61], v[62:63]
	v_accvgpr_read_b32 v63, a45
	v_accvgpr_read_b32 v64, a42
	;; [unrolled: 1-line block ×3, first 2 shown]
	v_add_f64 v[56:57], v[222:223], -v[56:57]
	v_add_f64 v[58:59], v[58:59], v[60:61]
	v_accvgpr_read_b32 v61, a47
	v_accvgpr_read_b32 v62, a44
	v_add_f64 v[64:65], v[64:65], v[66:67]
	v_add_f64 v[44:45], v[234:235], -v[78:79]
	v_add_f64 v[56:57], v[56:57], v[58:59]
	v_accvgpr_read_b32 v59, a51
	v_accvgpr_read_b32 v60, a46
	v_add_f64 v[62:63], v[62:63], v[176:177]
	v_add_f64 v[64:65], v[88:89], v[64:65]
	;; [unrolled: 1-line block ×3, first 2 shown]
	v_accvgpr_read_b32 v57, a55
	v_accvgpr_read_b32 v58, a50
	v_add_f64 v[60:61], v[60:61], v[188:189]
	v_add_f64 v[62:63], v[62:63], v[64:65]
	v_accvgpr_read_b32 v56, a54
	v_add_f64 v[58:59], v[58:59], v[200:201]
	v_add_f64 v[60:61], v[60:61], v[62:63]
	v_mul_f64 v[76:77], v[238:239], s[22:23]
	v_add_f64 v[56:57], v[56:57], v[214:215]
	v_add_f64 v[58:59], v[58:59], v[60:61]
	;; [unrolled: 1-line block ×29, first 2 shown]
	v_accvgpr_read_b32 v44, a1
	v_lshlrev_b32_e32 v44, 4, v44
	ds_write_b128 v44, v[88:91]
	ds_write_b128 v44, v[172:175] offset:16
	ds_write_b128 v44, v[182:185] offset:32
	;; [unrolled: 1-line block ×12, first 2 shown]
.LBB0_17:
	s_or_b64 exec, exec, s[0:1]
	s_waitcnt lgkmcnt(0)
	s_barrier
	ds_read_b128 v[88:91], v168
	ds_read_b128 v[32:35], v168 offset:2704
	ds_read_b128 v[44:47], v168 offset:5408
	;; [unrolled: 1-line block ×10, first 2 shown]
	s_waitcnt lgkmcnt(9)
	v_mul_f64 v[48:49], v[14:15], v[34:35]
	v_mul_f64 v[14:15], v[14:15], v[32:33]
	v_fmac_f64_e32 v[48:49], v[12:13], v[32:33]
	v_fma_f64 v[32:33], v[12:13], v[34:35], -v[14:15]
	s_waitcnt lgkmcnt(8)
	v_mul_f64 v[34:35], v[10:11], v[46:47]
	v_mul_f64 v[10:11], v[10:11], v[44:45]
	s_waitcnt lgkmcnt(6)
	v_mul_f64 v[12:13], v[2:3], v[94:95]
	v_mul_f64 v[2:3], v[2:3], v[92:93]
	v_fmac_f64_e32 v[34:35], v[8:9], v[44:45]
	v_fma_f64 v[44:45], v[8:9], v[46:47], -v[10:11]
	v_mul_f64 v[46:47], v[6:7], v[54:55]
	v_mul_f64 v[6:7], v[6:7], v[52:53]
	v_fmac_f64_e32 v[12:13], v[0:1], v[92:93]
	v_fma_f64 v[14:15], v[0:1], v[94:95], -v[2:3]
	s_waitcnt lgkmcnt(5)
	v_mul_f64 v[0:1], v[30:31], v[96:97]
	v_fmac_f64_e32 v[46:47], v[4:5], v[52:53]
	v_fma_f64 v[52:53], v[4:5], v[54:55], -v[6:7]
	v_fma_f64 v[6:7], v[28:29], v[98:99], -v[0:1]
	s_waitcnt lgkmcnt(4)
	v_mul_f64 v[8:9], v[26:27], v[102:103]
	v_mul_f64 v[0:1], v[26:27], v[100:101]
	v_fmac_f64_e32 v[8:9], v[24:25], v[100:101]
	v_fma_f64 v[10:11], v[24:25], v[102:103], -v[0:1]
	s_waitcnt lgkmcnt(3)
	v_mul_f64 v[24:25], v[22:23], v[106:107]
	v_mul_f64 v[0:1], v[22:23], v[104:105]
	v_fmac_f64_e32 v[24:25], v[20:21], v[104:105]
	;; [unrolled: 5-line block ×3, first 2 shown]
	v_fma_f64 v[16:17], v[16:17], v[110:111], -v[0:1]
	s_waitcnt lgkmcnt(1)
	v_mul_f64 v[0:1], v[42:43], v[112:113]
	v_fma_f64 v[26:27], v[40:41], v[114:115], -v[0:1]
	s_waitcnt lgkmcnt(0)
	v_mul_f64 v[0:1], v[38:39], v[116:117]
	v_mul_f64 v[4:5], v[30:31], v[98:99]
	v_fma_f64 v[30:31], v[36:37], v[118:119], -v[0:1]
	v_add_f64 v[0:1], v[88:89], v[48:49]
	v_add_f64 v[2:3], v[90:91], v[32:33]
	;; [unrolled: 1-line block ×5, first 2 shown]
	v_fmac_f64_e32 v[4:5], v[28:29], v[96:97]
	v_add_f64 v[2:3], v[2:3], v[52:53]
	v_add_f64 v[0:1], v[0:1], v[12:13]
	;; [unrolled: 1-line block ×6, first 2 shown]
	v_mul_f64 v[18:19], v[42:43], v[114:115]
	v_add_f64 v[2:3], v[2:3], v[10:11]
	v_add_f64 v[0:1], v[0:1], v[24:25]
	v_fmac_f64_e32 v[18:19], v[40:41], v[112:113]
	v_mul_f64 v[28:29], v[38:39], v[118:119]
	v_add_f64 v[2:3], v[2:3], v[20:21]
	v_add_f64 v[0:1], v[0:1], v[22:23]
	s_mov_b32 s22, 0x8764f0ba
	s_mov_b32 s14, 0xd9c712b6
	;; [unrolled: 1-line block ×5, first 2 shown]
	v_fmac_f64_e32 v[28:29], v[36:37], v[116:117]
	v_add_f64 v[2:3], v[2:3], v[16:17]
	v_add_f64 v[0:1], v[0:1], v[18:19]
	;; [unrolled: 1-line block ×3, first 2 shown]
	s_mov_b32 s23, 0x3feaeb8c
	s_mov_b32 s15, 0x3fda9628
	s_mov_b32 s19, 0xbfc2375f
	s_mov_b32 s31, 0xbfe4f49e
	s_mov_b32 s36, 0xfd768dbf
	s_mov_b32 s39, 0xbfeeb42a
	v_add_f64 v[2:3], v[2:3], v[26:27]
	v_add_f64 v[0:1], v[0:1], v[28:29]
	;; [unrolled: 1-line block ×3, first 2 shown]
	v_add_f64 v[28:29], v[48:49], -v[28:29]
	s_mov_b32 s20, 0xf8bb580b
	v_mul_f64 v[42:43], v[38:39], s[22:23]
	s_mov_b32 s10, 0x8eee2c13
	v_mul_f64 v[58:59], v[38:39], s[14:15]
	;; [unrolled: 2-line block ×5, first 2 shown]
	s_mov_b32 s41, 0x3fd207e7
	s_mov_b32 s40, s36
	v_add_f64 v[2:3], v[2:3], v[30:31]
	v_add_f64 v[30:31], v[32:33], -v[30:31]
	s_mov_b32 s21, 0xbfe14ced
	s_mov_b32 s25, 0x3fe14ced
	;; [unrolled: 1-line block ×12, first 2 shown]
	v_fma_f64 v[92:93], s[40:41], v[28:29], v[38:39]
	v_fmac_f64_e32 v[38:39], s[36:37], v[28:29]
	v_mul_f64 v[32:33], v[30:31], s[20:21]
	v_fma_f64 v[48:49], s[24:25], v[28:29], v[42:43]
	v_fmac_f64_e32 v[42:43], s[20:21], v[28:29]
	v_mul_f64 v[54:55], v[30:31], s[10:11]
	v_fma_f64 v[60:61], s[16:17], v[28:29], v[58:59]
	v_fmac_f64_e32 v[58:59], s[10:11], v[28:29]
	v_mul_f64 v[62:63], v[30:31], s[0:1]
	v_fma_f64 v[68:69], s[26:27], v[28:29], v[66:67]
	v_fmac_f64_e32 v[66:67], s[0:1], v[28:29]
	v_mul_f64 v[70:71], v[30:31], s[28:29]
	v_fma_f64 v[76:77], s[34:35], v[28:29], v[74:75]
	v_fmac_f64_e32 v[74:75], s[28:29], v[28:29]
	v_mul_f64 v[30:31], v[30:31], s[36:37]
	v_add_f64 v[28:29], v[90:91], v[38:39]
	v_add_f64 v[38:39], v[44:45], v[26:27]
	v_add_f64 v[26:27], v[44:45], -v[26:27]
	v_fma_f64 v[40:41], s[22:23], v[36:37], v[32:33]
	v_fma_f64 v[32:33], v[36:37], s[22:23], -v[32:33]
	v_fma_f64 v[56:57], s[14:15], v[36:37], v[54:55]
	v_fma_f64 v[54:55], v[36:37], s[14:15], -v[54:55]
	;; [unrolled: 2-line block ×5, first 2 shown]
	v_add_f64 v[36:37], v[34:35], v[18:19]
	v_add_f64 v[18:19], v[34:35], -v[18:19]
	v_mul_f64 v[34:35], v[26:27], s[10:11]
	v_add_f64 v[40:41], v[88:89], v[40:41]
	v_fma_f64 v[44:45], s[14:15], v[36:37], v[34:35]
	v_add_f64 v[40:41], v[44:45], v[40:41]
	v_mul_f64 v[44:45], v[38:39], s[14:15]
	v_add_f64 v[32:33], v[88:89], v[32:33]
	v_add_f64 v[42:43], v[90:91], v[42:43]
	;; [unrolled: 1-line block ×10, first 2 shown]
	v_fma_f64 v[88:89], s[16:17], v[18:19], v[44:45]
	v_fma_f64 v[34:35], v[36:37], s[14:15], -v[34:35]
	v_fmac_f64_e32 v[44:45], s[10:11], v[18:19]
	v_add_f64 v[32:33], v[34:35], v[32:33]
	v_add_f64 v[34:35], v[44:45], v[42:43]
	v_mul_f64 v[42:43], v[26:27], s[28:29]
	v_fma_f64 v[44:45], s[30:31], v[36:37], v[42:43]
	v_add_f64 v[48:49], v[90:91], v[48:49]
	v_add_f64 v[44:45], v[44:45], v[56:57]
	v_mul_f64 v[56:57], v[38:39], s[30:31]
	v_add_f64 v[58:59], v[90:91], v[58:59]
	v_add_f64 v[48:49], v[88:89], v[48:49]
	v_fma_f64 v[88:89], s[34:35], v[18:19], v[56:57]
	v_fma_f64 v[42:43], v[36:37], s[30:31], -v[42:43]
	v_fmac_f64_e32 v[56:57], s[28:29], v[18:19]
	v_add_f64 v[42:43], v[42:43], v[54:55]
	v_add_f64 v[54:55], v[56:57], v[58:59]
	v_mul_f64 v[56:57], v[26:27], s[40:41]
	v_fma_f64 v[58:59], s[38:39], v[36:37], v[56:57]
	v_add_f64 v[60:61], v[90:91], v[60:61]
	v_add_f64 v[58:59], v[58:59], v[64:65]
	v_mul_f64 v[64:65], v[38:39], s[38:39]
	v_add_f64 v[66:67], v[90:91], v[66:67]
	v_add_f64 v[60:61], v[88:89], v[60:61]
	;; [unrolled: 12-line block ×3, first 2 shown]
	v_fma_f64 v[88:89], s[0:1], v[18:19], v[72:73]
	v_fma_f64 v[64:65], v[36:37], s[18:19], -v[64:65]
	v_fmac_f64_e32 v[72:73], s[26:27], v[18:19]
	v_mul_f64 v[26:27], v[26:27], s[24:25]
	v_add_f64 v[64:65], v[64:65], v[70:71]
	v_add_f64 v[70:71], v[72:73], v[74:75]
	v_fma_f64 v[72:73], s[22:23], v[36:37], v[26:27]
	v_mul_f64 v[38:39], v[38:39], s[22:23]
	v_fma_f64 v[26:27], v[36:37], s[22:23], -v[26:27]
	v_fma_f64 v[74:75], s[20:21], v[18:19], v[38:39]
	v_add_f64 v[26:27], v[26:27], v[30:31]
	v_fmac_f64_e32 v[38:39], s[24:25], v[18:19]
	v_add_f64 v[30:31], v[52:53], v[16:17]
	v_add_f64 v[16:17], v[52:53], -v[16:17]
	v_add_f64 v[18:19], v[38:39], v[28:29]
	v_add_f64 v[28:29], v[46:47], v[22:23]
	v_mul_f64 v[36:37], v[16:17], s[0:1]
	v_fma_f64 v[38:39], s[18:19], v[28:29], v[36:37]
	v_add_f64 v[22:23], v[46:47], -v[22:23]
	v_add_f64 v[38:39], v[38:39], v[40:41]
	v_mul_f64 v[40:41], v[30:31], s[18:19]
	v_fma_f64 v[36:37], v[28:29], s[18:19], -v[36:37]
	v_fma_f64 v[46:47], s[26:27], v[22:23], v[40:41]
	v_add_f64 v[32:33], v[36:37], v[32:33]
	v_fmac_f64_e32 v[40:41], s[0:1], v[22:23]
	v_mul_f64 v[36:37], v[16:17], s[40:41]
	v_add_f64 v[34:35], v[40:41], v[34:35]
	v_fma_f64 v[40:41], s[38:39], v[28:29], v[36:37]
	v_add_f64 v[40:41], v[40:41], v[44:45]
	v_mul_f64 v[44:45], v[30:31], s[38:39]
	v_add_f64 v[46:47], v[46:47], v[48:49]
	v_fma_f64 v[48:49], s[36:37], v[22:23], v[44:45]
	v_fma_f64 v[36:37], v[28:29], s[38:39], -v[36:37]
	v_fmac_f64_e32 v[44:45], s[40:41], v[22:23]
	v_add_f64 v[36:37], v[36:37], v[42:43]
	v_add_f64 v[42:43], v[44:45], v[54:55]
	v_mul_f64 v[44:45], v[16:17], s[16:17]
	v_fma_f64 v[52:53], s[14:15], v[28:29], v[44:45]
	v_fma_f64 v[44:45], v[28:29], s[14:15], -v[44:45]
	v_add_f64 v[44:45], v[44:45], v[56:57]
	v_mul_f64 v[56:57], v[16:17], s[20:21]
	v_add_f64 v[48:49], v[48:49], v[60:61]
	v_mul_f64 v[54:55], v[30:31], s[14:15]
	v_fma_f64 v[60:61], s[22:23], v[28:29], v[56:57]
	v_fma_f64 v[56:57], v[28:29], s[22:23], -v[56:57]
	v_mul_f64 v[16:17], v[16:17], s[28:29]
	v_add_f64 v[52:53], v[52:53], v[58:59]
	v_fma_f64 v[58:59], s[10:11], v[22:23], v[54:55]
	v_fmac_f64_e32 v[54:55], s[16:17], v[22:23]
	v_add_f64 v[56:57], v[56:57], v[64:65]
	v_fma_f64 v[64:65], s[30:31], v[28:29], v[16:17]
	v_fma_f64 v[16:17], v[28:29], s[30:31], -v[16:17]
	v_add_f64 v[54:55], v[54:55], v[62:63]
	v_mul_f64 v[62:63], v[30:31], s[22:23]
	v_mul_f64 v[30:31], v[30:31], s[30:31]
	v_add_f64 v[16:17], v[16:17], v[26:27]
	v_add_f64 v[26:27], v[14:15], v[20:21]
	v_add_f64 v[14:15], v[14:15], -v[20:21]
	v_add_f64 v[58:59], v[58:59], v[68:69]
	v_add_f64 v[60:61], v[60:61], v[66:67]
	v_fma_f64 v[66:67], s[24:25], v[22:23], v[62:63]
	v_fmac_f64_e32 v[62:63], s[20:21], v[22:23]
	v_fma_f64 v[68:69], s[34:35], v[22:23], v[30:31]
	v_fmac_f64_e32 v[30:31], s[28:29], v[22:23]
	v_add_f64 v[22:23], v[12:13], v[24:25]
	v_mul_f64 v[20:21], v[14:15], s[28:29]
	v_add_f64 v[12:13], v[12:13], -v[24:25]
	v_fma_f64 v[24:25], s[30:31], v[22:23], v[20:21]
	v_mul_f64 v[28:29], v[26:27], s[30:31]
	v_fma_f64 v[20:21], v[22:23], s[30:31], -v[20:21]
	v_add_f64 v[18:19], v[30:31], v[18:19]
	v_fma_f64 v[30:31], s[34:35], v[12:13], v[28:29]
	v_add_f64 v[20:21], v[20:21], v[32:33]
	v_fmac_f64_e32 v[28:29], s[28:29], v[12:13]
	v_mul_f64 v[32:33], v[14:15], s[26:27]
	v_add_f64 v[24:25], v[24:25], v[38:39]
	v_add_f64 v[28:29], v[28:29], v[34:35]
	v_fma_f64 v[34:35], s[18:19], v[22:23], v[32:33]
	v_mul_f64 v[38:39], v[26:27], s[18:19]
	v_add_f64 v[34:35], v[34:35], v[40:41]
	v_fma_f64 v[40:41], s[0:1], v[12:13], v[38:39]
	v_fma_f64 v[32:33], v[22:23], s[18:19], -v[32:33]
	v_fmac_f64_e32 v[38:39], s[26:27], v[12:13]
	v_add_f64 v[30:31], v[30:31], v[46:47]
	v_add_f64 v[32:33], v[32:33], v[36:37]
	;; [unrolled: 1-line block ×3, first 2 shown]
	v_mul_f64 v[38:39], v[14:15], s[20:21]
	v_mul_f64 v[46:47], v[26:27], s[22:23]
	v_add_f64 v[40:41], v[40:41], v[48:49]
	v_fma_f64 v[42:43], s[22:23], v[22:23], v[38:39]
	v_fma_f64 v[48:49], s[24:25], v[12:13], v[46:47]
	v_fma_f64 v[38:39], v[22:23], s[22:23], -v[38:39]
	v_fmac_f64_e32 v[46:47], s[20:21], v[12:13]
	v_add_f64 v[92:93], v[90:91], v[92:93]
	v_add_f64 v[38:39], v[38:39], v[44:45]
	;; [unrolled: 1-line block ×3, first 2 shown]
	v_mul_f64 v[46:47], v[14:15], s[36:37]
	v_add_f64 v[76:77], v[90:91], v[76:77]
	v_add_f64 v[74:75], v[74:75], v[92:93]
	;; [unrolled: 1-line block ×3, first 2 shown]
	v_fma_f64 v[52:53], s[38:39], v[22:23], v[46:47]
	v_mul_f64 v[54:55], v[26:27], s[38:39]
	v_mul_f64 v[26:27], v[26:27], s[14:15]
	v_add_f64 v[76:77], v[88:89], v[76:77]
	v_add_f64 v[72:73], v[72:73], v[78:79]
	;; [unrolled: 1-line block ×4, first 2 shown]
	v_fma_f64 v[60:61], s[10:11], v[12:13], v[26:27]
	v_add_f64 v[66:67], v[66:67], v[76:77]
	v_add_f64 v[64:65], v[64:65], v[72:73]
	;; [unrolled: 1-line block ×3, first 2 shown]
	v_fma_f64 v[58:59], s[40:41], v[12:13], v[54:55]
	v_fma_f64 v[46:47], v[22:23], s[38:39], -v[46:47]
	v_mul_f64 v[14:15], v[14:15], s[16:17]
	v_add_f64 v[60:61], v[60:61], v[68:69]
	v_add_f64 v[68:69], v[6:7], v[10:11]
	v_add_f64 v[72:73], v[6:7], -v[10:11]
	v_add_f64 v[62:63], v[62:63], v[70:71]
	v_add_f64 v[58:59], v[58:59], v[66:67]
	;; [unrolled: 1-line block ×3, first 2 shown]
	v_fmac_f64_e32 v[54:55], s[36:37], v[12:13]
	v_fma_f64 v[56:57], s[14:15], v[22:23], v[14:15]
	v_fma_f64 v[14:15], v[22:23], s[14:15], -v[14:15]
	v_add_f64 v[66:67], v[4:5], v[8:9]
	v_add_f64 v[70:71], v[4:5], -v[8:9]
	v_mul_f64 v[8:9], v[72:73], s[36:37]
	v_mul_f64 v[10:11], v[68:69], s[38:39]
	v_add_f64 v[54:55], v[54:55], v[62:63]
	v_add_f64 v[62:63], v[14:15], v[16:17]
	v_fmac_f64_e32 v[26:27], s[16:17], v[12:13]
	v_fma_f64 v[4:5], s[38:39], v[66:67], v[8:9]
	v_fma_f64 v[6:7], s[40:41], v[70:71], v[10:11]
	v_fma_f64 v[8:9], v[66:67], s[38:39], -v[8:9]
	v_fmac_f64_e32 v[10:11], s[36:37], v[70:71]
	v_mul_f64 v[12:13], v[72:73], s[24:25]
	v_mul_f64 v[14:15], v[68:69], s[22:23]
	v_add_f64 v[56:57], v[56:57], v[64:65]
	v_add_f64 v[64:65], v[26:27], v[18:19]
	;; [unrolled: 1-line block ×4, first 2 shown]
	v_fma_f64 v[8:9], s[22:23], v[66:67], v[12:13]
	v_fma_f64 v[10:11], s[20:21], v[70:71], v[14:15]
	v_fma_f64 v[12:13], v[66:67], s[22:23], -v[12:13]
	v_fmac_f64_e32 v[14:15], s[24:25], v[70:71]
	v_mul_f64 v[20:21], v[72:73], s[28:29]
	v_mul_f64 v[22:23], v[68:69], s[30:31]
	v_add_f64 v[4:5], v[4:5], v[24:25]
	v_add_f64 v[6:7], v[6:7], v[30:31]
	;; [unrolled: 1-line block ×4, first 2 shown]
	v_fma_f64 v[12:13], s[30:31], v[66:67], v[20:21]
	v_fma_f64 v[14:15], s[34:35], v[70:71], v[22:23]
	v_fma_f64 v[20:21], v[66:67], s[30:31], -v[20:21]
	v_fmac_f64_e32 v[22:23], s[28:29], v[70:71]
	v_mul_f64 v[28:29], v[72:73], s[16:17]
	v_mul_f64 v[30:31], v[68:69], s[14:15]
	v_add_f64 v[8:9], v[8:9], v[34:35]
	v_add_f64 v[36:37], v[20:21], v[38:39]
	;; [unrolled: 1-line block ×3, first 2 shown]
	v_fma_f64 v[20:21], s[14:15], v[66:67], v[28:29]
	v_fma_f64 v[22:23], s[10:11], v[70:71], v[30:31]
	v_fma_f64 v[28:29], v[66:67], s[14:15], -v[28:29]
	v_fmac_f64_e32 v[30:31], s[16:17], v[70:71]
	v_mul_f64 v[32:33], v[72:73], s[0:1]
	v_mul_f64 v[34:35], v[68:69], s[18:19]
	v_add_f64 v[10:11], v[10:11], v[40:41]
	v_add_f64 v[12:13], v[12:13], v[42:43]
	;; [unrolled: 1-line block ×4, first 2 shown]
	v_fma_f64 v[28:29], s[18:19], v[66:67], v[32:33]
	v_fma_f64 v[30:31], s[26:27], v[70:71], v[34:35]
	v_fma_f64 v[32:33], v[66:67], s[18:19], -v[32:33]
	v_fmac_f64_e32 v[34:35], s[0:1], v[70:71]
	v_add_f64 v[14:15], v[14:15], v[48:49]
	v_add_f64 v[20:21], v[20:21], v[52:53]
	;; [unrolled: 1-line block ×7, first 2 shown]
	s_barrier
	ds_write_b128 v50, v[0:3]
	ds_write_b128 v50, v[4:7] offset:208
	ds_write_b128 v50, v[8:11] offset:416
	ds_write_b128 v50, v[12:15] offset:624
	ds_write_b128 v50, v[20:23] offset:832
	ds_write_b128 v50, v[28:31] offset:1040
	ds_write_b128 v50, v[88:91] offset:1248
	ds_write_b128 v50, v[40:43] offset:1456
	ds_write_b128 v50, v[36:39] offset:1664
	ds_write_b128 v50, v[24:27] offset:1872
	ds_write_b128 v50, v[16:19] offset:2080
	s_waitcnt lgkmcnt(0)
	s_barrier
	s_and_saveexec_b64 s[0:1], s[2:3]
	s_cbranch_execz .LBB0_19
; %bb.18:
	ds_read_b128 v[0:3], v168
	ds_read_b128 v[4:7], v168 offset:2288
	ds_read_b128 v[8:11], v168 offset:4576
	;; [unrolled: 1-line block ×12, first 2 shown]
.LBB0_19:
	s_or_b64 exec, exec, s[0:1]
	s_and_saveexec_b64 s[0:1], s[2:3]
	s_cbranch_execz .LBB0_21
; %bb.20:
	v_accvgpr_read_b32 v47, a41
	s_waitcnt lgkmcnt(6)
	v_mul_f64 v[92:93], v[82:83], v[90:91]
	v_accvgpr_read_b32 v46, a40
	v_mul_f64 v[32:33], v[82:83], v[88:89]
	v_fmac_f64_e32 v[92:93], v[80:81], v[88:89]
	v_accvgpr_read_b32 v45, a39
	v_accvgpr_read_b32 v44, a38
	v_fma_f64 v[80:81], v[80:81], v[90:91], -v[32:33]
	s_waitcnt lgkmcnt(5)
	v_mul_f64 v[32:33], v[46:47], v[40:41]
	v_fma_f64 v[76:77], v[44:45], v[42:43], -v[32:33]
	v_accvgpr_read_b32 v35, a29
	v_mul_f64 v[94:95], v[46:47], v[42:43]
	v_accvgpr_read_b32 v34, a28
	v_fmac_f64_e32 v[94:95], v[44:45], v[40:41]
	v_accvgpr_read_b32 v33, a27
	v_accvgpr_read_b32 v32, a26
	v_mul_f64 v[40:41], v[34:35], v[30:31]
	v_fmac_f64_e32 v[40:41], v[32:33], v[28:29]
	v_accvgpr_read_b32 v47, a33
	v_mul_f64 v[28:29], v[34:35], v[28:29]
	v_accvgpr_read_b32 v46, a32
	v_fma_f64 v[66:67], v[32:33], v[30:31], -v[28:29]
	v_accvgpr_read_b32 v35, a17
	v_accvgpr_read_b32 v45, a31
	;; [unrolled: 1-line block ×3, first 2 shown]
	s_waitcnt lgkmcnt(4)
	v_mul_f64 v[28:29], v[46:47], v[36:37]
	v_accvgpr_read_b32 v34, a16
	v_mul_f64 v[42:43], v[46:47], v[38:39]
	v_fma_f64 v[64:65], v[44:45], v[38:39], -v[28:29]
	v_accvgpr_read_b32 v33, a15
	v_accvgpr_read_b32 v32, a14
	v_mul_f64 v[38:39], v[34:35], v[22:23]
	v_fmac_f64_e32 v[38:39], v[32:33], v[20:21]
	v_mul_f64 v[20:21], v[34:35], v[20:21]
	v_fmac_f64_e32 v[42:43], v[44:45], v[36:37]
	s_waitcnt lgkmcnt(3)
	v_mul_f64 v[36:37], v[86:87], v[26:27]
	v_fma_f64 v[70:71], v[32:33], v[22:23], -v[20:21]
	v_mul_f64 v[20:21], v[86:87], v[24:25]
	v_fmac_f64_e32 v[36:37], v[84:85], v[24:25]
	v_fma_f64 v[54:55], v[84:85], v[26:27], -v[20:21]
	v_accvgpr_read_b32 v27, a13
	v_accvgpr_read_b32 v26, a12
	;; [unrolled: 1-line block ×4, first 2 shown]
	v_mul_f64 v[68:69], v[26:27], v[14:15]
	v_accvgpr_read_b32 v32, a34
	v_fmac_f64_e32 v[68:69], v[24:25], v[12:13]
	v_accvgpr_read_b32 v34, a36
	v_accvgpr_read_b32 v35, a37
	v_mul_f64 v[12:13], v[26:27], v[12:13]
	v_accvgpr_read_b32 v33, a35
	s_waitcnt lgkmcnt(2)
	v_mul_f64 v[52:53], v[34:35], v[18:19]
	v_fma_f64 v[84:85], v[24:25], v[14:15], -v[12:13]
	v_mul_f64 v[12:13], v[34:35], v[16:17]
	v_fmac_f64_e32 v[52:53], v[32:33], v[16:17]
	v_fma_f64 v[50:51], v[32:33], v[18:19], -v[12:13]
	v_accvgpr_read_b32 v19, a9
	v_accvgpr_read_b32 v18, a8
	;; [unrolled: 1-line block ×4, first 2 shown]
	v_mul_f64 v[72:73], v[18:19], v[10:11]
	v_accvgpr_read_b32 v27, a25
	v_fmac_f64_e32 v[72:73], v[16:17], v[8:9]
	v_accvgpr_read_b32 v26, a24
	v_mul_f64 v[8:9], v[18:19], v[8:9]
	v_accvgpr_read_b32 v25, a23
	v_accvgpr_read_b32 v24, a22
	s_waitcnt lgkmcnt(1)
	v_mul_f64 v[48:49], v[26:27], v[146:147]
	v_fma_f64 v[74:75], v[16:17], v[10:11], -v[8:9]
	v_mul_f64 v[8:9], v[26:27], v[144:145]
	v_accvgpr_read_b32 v19, a5
	v_fmac_f64_e32 v[48:49], v[24:25], v[144:145]
	v_fma_f64 v[46:47], v[24:25], v[146:147], -v[8:9]
	v_accvgpr_read_b32 v18, a4
	v_accvgpr_read_b32 v27, a21
	;; [unrolled: 1-line block ×4, first 2 shown]
	v_mul_f64 v[60:61], v[18:19], v[6:7]
	v_accvgpr_read_b32 v26, a20
	v_fmac_f64_e32 v[60:61], v[16:17], v[4:5]
	v_accvgpr_read_b32 v25, a19
	v_accvgpr_read_b32 v24, a18
	s_waitcnt lgkmcnt(0)
	v_mul_f64 v[44:45], v[26:27], v[142:143]
	v_mul_f64 v[4:5], v[18:19], v[4:5]
	v_fmac_f64_e32 v[44:45], v[24:25], v[140:141]
	s_mov_b32 s34, 0x4bc48dbf
	v_fma_f64 v[34:35], v[16:17], v[6:7], -v[4:5]
	v_mul_f64 v[4:5], v[26:27], v[140:141]
	v_add_f64 v[114:115], v[60:61], -v[44:45]
	s_mov_b32 s35, 0xbfcea1e5
	v_fma_f64 v[32:33], v[24:25], v[142:143], -v[4:5]
	s_mov_b32 s30, 0x93053d00
	s_mov_b32 s24, 0x24c2f84
	v_add_f64 v[102:103], v[72:73], -v[48:49]
	s_mov_b32 s29, 0x3fddbe06
	s_mov_b32 s28, 0x4267c47c
	;; [unrolled: 1-line block ×3, first 2 shown]
	v_mul_f64 v[10:11], v[114:115], s[34:35]
	v_add_f64 v[56:57], v[34:35], v[32:33]
	s_mov_b32 s31, 0xbfef11f4
	s_mov_b32 s38, 0x42a4c3d2
	v_add_f64 v[100:101], v[68:69], -v[52:53]
	s_mov_b32 s25, 0xbfe5384d
	s_mov_b32 s20, 0xd0032e0c
	v_mul_f64 v[14:15], v[102:103], s[28:29]
	v_add_f64 v[62:63], v[74:75], v[46:47]
	s_mov_b32 s23, 0x3fec55a7
	v_fma_f64 v[4:5], s[30:31], v[56:57], v[10:11]
	s_mov_b32 s18, 0x2ef20147
	v_add_f64 v[98:99], v[38:39], -v[36:37]
	s_mov_b32 s39, 0x3fea55e2
	s_mov_b32 s16, 0x1ea71119
	v_mul_f64 v[22:23], v[100:101], s[24:25]
	v_add_f64 v[90:91], v[84:85], v[50:51]
	s_mov_b32 s21, 0xbfe7f3cc
	v_fma_f64 v[8:9], s[22:23], v[62:63], v[14:15]
	v_add_f64 v[4:5], v[2:3], v[4:5]
	v_add_f64 v[88:89], v[40:41], -v[42:43]
	s_mov_b32 s19, 0xbfedeba7
	s_mov_b32 s14, 0xb2365da1
	v_mul_f64 v[30:31], v[98:99], s[38:39]
	v_add_f64 v[86:87], v[70:71], v[54:55]
	s_mov_b32 s17, 0x3fe22d96
	v_fma_f64 v[12:13], s[20:21], v[90:91], v[22:23]
	v_add_f64 v[4:5], v[8:9], v[4:5]
	v_mul_f64 v[130:131], v[88:89], s[18:19]
	v_add_f64 v[82:83], v[66:67], v[64:65]
	s_mov_b32 s15, 0xbfd6b1d8
	v_fma_f64 v[20:21], s[16:17], v[86:87], v[30:31]
	v_add_f64 v[4:5], v[12:13], v[4:5]
	v_add_f64 v[126:127], v[34:35], -v[32:33]
	v_fma_f64 v[28:29], s[14:15], v[82:83], v[130:131]
	v_add_f64 v[4:5], v[20:21], v[4:5]
	v_add_f64 v[124:125], v[74:75], -v[46:47]
	v_add_f64 v[112:113], v[60:61], v[44:45]
	v_mul_f64 v[134:135], v[126:127], s[34:35]
	s_mov_b32 s26, 0x66966769
	v_add_f64 v[4:5], v[28:29], v[4:5]
	v_add_f64 v[122:123], v[84:85], -v[50:51]
	v_add_f64 v[110:111], v[72:73], v[48:49]
	v_mul_f64 v[28:29], v[124:125], s[28:29]
	v_fma_f64 v[136:137], v[112:113], s[30:31], -v[134:135]
	v_add_f64 v[96:97], v[92:93], -v[94:95]
	s_mov_b32 s27, 0x3fefc445
	s_mov_b32 s10, 0xebaa3ed8
	v_add_f64 v[120:121], v[70:71], -v[54:55]
	v_add_f64 v[108:109], v[68:69], v[52:53]
	v_mul_f64 v[24:25], v[122:123], s[24:25]
	v_fma_f64 v[132:133], v[110:111], s[22:23], -v[28:29]
	v_add_f64 v[136:137], v[0:1], v[136:137]
	v_mul_f64 v[128:129], v[96:97], s[26:27]
	v_add_f64 v[78:79], v[80:81], v[76:77]
	s_mov_b32 s11, 0x3fbedb7d
	v_add_f64 v[118:119], v[66:67], -v[64:65]
	v_add_f64 v[106:107], v[38:39], v[36:37]
	v_mul_f64 v[18:19], v[120:121], s[38:39]
	v_fma_f64 v[26:27], v[108:109], s[20:21], -v[24:25]
	v_add_f64 v[132:133], v[132:133], v[136:137]
	v_fma_f64 v[58:59], s[10:11], v[78:79], v[128:129]
	v_add_f64 v[116:117], v[80:81], -v[76:77]
	v_add_f64 v[104:105], v[40:41], v[42:43]
	v_mul_f64 v[12:13], v[118:119], s[18:19]
	v_fma_f64 v[20:21], v[106:107], s[16:17], -v[18:19]
	v_add_f64 v[26:27], v[26:27], v[132:133]
	v_add_f64 v[6:7], v[58:59], v[4:5]
	;; [unrolled: 1-line block ×3, first 2 shown]
	v_mul_f64 v[8:9], v[116:117], s[26:27]
	v_fma_f64 v[16:17], v[104:105], s[14:15], -v[12:13]
	v_add_f64 v[20:21], v[20:21], v[26:27]
	v_fma_f64 v[10:11], v[56:57], s[30:31], -v[10:11]
	v_fma_f64 v[4:5], v[58:59], s[10:11], -v[8:9]
	v_add_f64 v[16:17], v[16:17], v[20:21]
	v_fma_f64 v[14:15], v[62:63], s[22:23], -v[14:15]
	v_add_f64 v[10:11], v[2:3], v[10:11]
	v_fmac_f64_e32 v[134:135], s[30:31], v[112:113]
	v_add_f64 v[4:5], v[4:5], v[16:17]
	v_fma_f64 v[16:17], v[78:79], s[10:11], -v[128:129]
	v_fma_f64 v[22:23], v[90:91], s[20:21], -v[22:23]
	v_add_f64 v[10:11], v[14:15], v[10:11]
	v_fmac_f64_e32 v[28:29], s[22:23], v[110:111]
	v_add_f64 v[14:15], v[0:1], v[134:135]
	v_mul_f64 v[128:129], v[114:115], s[24:25]
	v_fma_f64 v[20:21], v[82:83], s[14:15], -v[130:131]
	v_fma_f64 v[26:27], v[86:87], s[16:17], -v[30:31]
	v_add_f64 v[10:11], v[22:23], v[10:11]
	v_fmac_f64_e32 v[24:25], s[20:21], v[108:109]
	v_add_f64 v[14:15], v[28:29], v[14:15]
	s_mov_b32 s37, 0xbfea55e2
	s_mov_b32 s36, s38
	v_mul_f64 v[28:29], v[102:103], s[26:27]
	v_fma_f64 v[130:131], s[20:21], v[56:57], v[128:129]
	v_mul_f64 v[142:143], v[126:127], s[24:25]
	v_add_f64 v[10:11], v[26:27], v[10:11]
	v_add_f64 v[14:15], v[24:25], v[14:15]
	s_mov_b32 s45, 0x3fcea1e5
	s_mov_b32 s44, s34
	v_mul_f64 v[24:25], v[100:101], s[36:37]
	v_fma_f64 v[30:31], s[10:11], v[62:63], v[28:29]
	v_add_f64 v[130:131], v[2:3], v[130:131]
	v_mul_f64 v[138:139], v[124:125], s[26:27]
	v_fma_f64 v[144:145], v[112:113], s[20:21], -v[142:143]
	v_add_f64 v[10:11], v[20:21], v[10:11]
	v_fmac_f64_e32 v[18:19], s[16:17], v[106:107]
	v_mul_f64 v[20:21], v[98:99], s[44:45]
	v_fma_f64 v[26:27], s[16:17], v[90:91], v[24:25]
	v_add_f64 v[30:31], v[30:31], v[130:131]
	v_mul_f64 v[134:135], v[122:123], s[36:37]
	v_fma_f64 v[140:141], v[110:111], s[10:11], -v[138:139]
	v_add_f64 v[144:145], v[0:1], v[144:145]
	v_fmac_f64_e32 v[12:13], s[14:15], v[104:105]
	v_add_f64 v[14:15], v[18:19], v[14:15]
	v_mul_f64 v[18:19], v[88:89], s[28:29]
	v_fma_f64 v[22:23], s[30:31], v[86:87], v[20:21]
	v_add_f64 v[26:27], v[26:27], v[30:31]
	v_mul_f64 v[130:131], v[120:121], s[44:45]
	v_fma_f64 v[136:137], v[108:109], s[16:17], -v[134:135]
	v_add_f64 v[140:141], v[140:141], v[144:145]
	v_add_f64 v[10:11], v[16:17], v[10:11]
	v_fmac_f64_e32 v[8:9], s[10:11], v[58:59]
	v_add_f64 v[12:13], v[12:13], v[14:15]
	v_mul_f64 v[16:17], v[96:97], s[18:19]
	v_fma_f64 v[14:15], s[22:23], v[82:83], v[18:19]
	v_add_f64 v[22:23], v[22:23], v[26:27]
	v_mul_f64 v[26:27], v[118:119], s[28:29]
	v_fma_f64 v[132:133], v[106:107], s[30:31], -v[130:131]
	v_add_f64 v[136:137], v[136:137], v[140:141]
	v_add_f64 v[8:9], v[8:9], v[12:13]
	v_fma_f64 v[12:13], s[14:15], v[78:79], v[16:17]
	v_add_f64 v[14:15], v[14:15], v[22:23]
	v_mul_f64 v[22:23], v[116:117], s[18:19]
	v_fma_f64 v[30:31], v[104:105], s[22:23], -v[26:27]
	v_add_f64 v[132:133], v[132:133], v[136:137]
	v_add_f64 v[14:15], v[12:13], v[14:15]
	v_fma_f64 v[12:13], v[58:59], s[14:15], -v[22:23]
	v_add_f64 v[30:31], v[30:31], v[132:133]
	v_add_f64 v[12:13], v[12:13], v[30:31]
	v_fma_f64 v[30:31], v[56:57], s[20:21], -v[128:129]
	v_fma_f64 v[28:29], v[62:63], s[10:11], -v[28:29]
	v_add_f64 v[30:31], v[2:3], v[30:31]
	v_fma_f64 v[24:25], v[90:91], s[16:17], -v[24:25]
	v_add_f64 v[28:29], v[28:29], v[30:31]
	;; [unrolled: 2-line block ×5, first 2 shown]
	v_fmac_f64_e32 v[142:143], s[20:21], v[112:113]
	v_add_f64 v[18:19], v[16:17], v[18:19]
	v_fmac_f64_e32 v[138:139], s[10:11], v[110:111]
	v_add_f64 v[16:17], v[0:1], v[142:143]
	s_mov_b32 s43, 0x3fe5384d
	s_mov_b32 s42, s24
	v_mul_f64 v[136:137], v[114:115], s[18:19]
	v_fmac_f64_e32 v[134:135], s[16:17], v[108:109]
	v_add_f64 v[16:17], v[138:139], v[16:17]
	v_mul_f64 v[132:133], v[102:103], s[42:43]
	v_fma_f64 v[138:139], s[14:15], v[56:57], v[136:137]
	v_mul_f64 v[150:151], v[126:127], s[18:19]
	v_fmac_f64_e32 v[130:131], s[30:31], v[106:107]
	v_add_f64 v[16:17], v[134:135], v[16:17]
	s_mov_b32 s41, 0xbfefc445
	s_mov_b32 s40, s26
	v_mul_f64 v[128:129], v[100:101], s[28:29]
	v_fma_f64 v[134:135], s[20:21], v[62:63], v[132:133]
	v_add_f64 v[138:139], v[2:3], v[138:139]
	v_mul_f64 v[146:147], v[124:125], s[42:43]
	v_fma_f64 v[152:153], v[112:113], s[14:15], -v[150:151]
	v_fmac_f64_e32 v[26:27], s[22:23], v[104:105]
	v_add_f64 v[16:17], v[130:131], v[16:17]
	v_mul_f64 v[28:29], v[98:99], s[40:41]
	v_fma_f64 v[130:131], s[22:23], v[90:91], v[128:129]
	v_add_f64 v[134:135], v[134:135], v[138:139]
	v_mul_f64 v[142:143], v[122:123], s[28:29]
	v_fma_f64 v[148:149], v[110:111], s[20:21], -v[146:147]
	v_add_f64 v[152:153], v[0:1], v[152:153]
	v_fmac_f64_e32 v[22:23], s[14:15], v[58:59]
	v_add_f64 v[16:17], v[26:27], v[16:17]
	v_mul_f64 v[26:27], v[88:89], s[44:45]
	v_fma_f64 v[30:31], s[10:11], v[86:87], v[28:29]
	v_add_f64 v[130:131], v[130:131], v[134:135]
	v_mul_f64 v[138:139], v[120:121], s[40:41]
	v_fma_f64 v[144:145], v[108:109], s[22:23], -v[142:143]
	v_add_f64 v[148:149], v[148:149], v[152:153]
	v_add_f64 v[16:17], v[22:23], v[16:17]
	v_mul_f64 v[24:25], v[96:97], s[38:39]
	v_fma_f64 v[22:23], s[30:31], v[82:83], v[26:27]
	v_add_f64 v[30:31], v[30:31], v[130:131]
	v_mul_f64 v[130:131], v[118:119], s[44:45]
	v_fma_f64 v[140:141], v[106:107], s[10:11], -v[138:139]
	v_add_f64 v[144:145], v[144:145], v[148:149]
	v_fma_f64 v[20:21], s[16:17], v[78:79], v[24:25]
	v_add_f64 v[22:23], v[22:23], v[30:31]
	v_mul_f64 v[30:31], v[116:117], s[38:39]
	v_fma_f64 v[134:135], v[104:105], s[30:31], -v[130:131]
	v_add_f64 v[140:141], v[140:141], v[144:145]
	v_add_f64 v[22:23], v[20:21], v[22:23]
	v_fma_f64 v[20:21], v[58:59], s[16:17], -v[30:31]
	v_add_f64 v[134:135], v[134:135], v[140:141]
	v_add_f64 v[20:21], v[20:21], v[134:135]
	v_fma_f64 v[134:135], v[56:57], s[14:15], -v[136:137]
	v_fma_f64 v[132:133], v[62:63], s[20:21], -v[132:133]
	v_add_f64 v[134:135], v[2:3], v[134:135]
	v_fma_f64 v[128:129], v[90:91], s[22:23], -v[128:129]
	v_add_f64 v[132:133], v[132:133], v[134:135]
	;; [unrolled: 2-line block ×5, first 2 shown]
	v_fmac_f64_e32 v[150:151], s[14:15], v[112:113]
	v_add_f64 v[26:27], v[24:25], v[26:27]
	v_fmac_f64_e32 v[146:147], s[20:21], v[110:111]
	v_add_f64 v[24:25], v[0:1], v[150:151]
	v_mul_f64 v[144:145], v[114:115], s[40:41]
	v_fmac_f64_e32 v[142:143], s[22:23], v[108:109]
	v_add_f64 v[24:25], v[146:147], v[24:25]
	s_mov_b32 s39, 0x3fedeba7
	s_mov_b32 s38, s18
	v_mul_f64 v[140:141], v[102:103], s[34:35]
	v_fma_f64 v[146:147], s[10:11], v[56:57], v[144:145]
	v_mul_f64 v[158:159], v[126:127], s[40:41]
	v_fmac_f64_e32 v[138:139], s[10:11], v[106:107]
	v_add_f64 v[24:25], v[142:143], v[24:25]
	v_mul_f64 v[136:137], v[100:101], s[38:39]
	v_fma_f64 v[142:143], s[30:31], v[62:63], v[140:141]
	v_add_f64 v[146:147], v[2:3], v[146:147]
	v_mul_f64 v[154:155], v[124:125], s[34:35]
	v_fma_f64 v[160:161], v[112:113], s[10:11], -v[158:159]
	v_fmac_f64_e32 v[130:131], s[30:31], v[104:105]
	v_add_f64 v[24:25], v[138:139], v[24:25]
	v_mul_f64 v[132:133], v[98:99], s[28:29]
	v_fma_f64 v[138:139], s[14:15], v[90:91], v[136:137]
	v_add_f64 v[142:143], v[142:143], v[146:147]
	v_mul_f64 v[150:151], v[122:123], s[38:39]
	v_fma_f64 v[156:157], v[110:111], s[30:31], -v[154:155]
	v_add_f64 v[160:161], v[0:1], v[160:161]
	v_fmac_f64_e32 v[30:31], s[16:17], v[58:59]
	v_add_f64 v[24:25], v[130:131], v[24:25]
	v_mul_f64 v[130:131], v[88:89], s[36:37]
	v_fma_f64 v[134:135], s[22:23], v[86:87], v[132:133]
	v_add_f64 v[138:139], v[138:139], v[142:143]
	v_mul_f64 v[146:147], v[120:121], s[28:29]
	v_fma_f64 v[152:153], v[108:109], s[14:15], -v[150:151]
	v_add_f64 v[156:157], v[156:157], v[160:161]
	v_add_f64 v[24:25], v[30:31], v[24:25]
	v_mul_f64 v[128:129], v[96:97], s[24:25]
	v_fma_f64 v[30:31], s[16:17], v[82:83], v[130:131]
	v_add_f64 v[134:135], v[134:135], v[138:139]
	v_mul_f64 v[138:139], v[118:119], s[36:37]
	v_fma_f64 v[148:149], v[106:107], s[22:23], -v[146:147]
	v_add_f64 v[152:153], v[152:153], v[156:157]
	v_fma_f64 v[28:29], s[20:21], v[78:79], v[128:129]
	v_add_f64 v[30:31], v[30:31], v[134:135]
	v_mul_f64 v[134:135], v[116:117], s[24:25]
	v_fma_f64 v[142:143], v[104:105], s[16:17], -v[138:139]
	v_add_f64 v[148:149], v[148:149], v[152:153]
	v_add_f64 v[30:31], v[28:29], v[30:31]
	v_fma_f64 v[28:29], v[58:59], s[20:21], -v[134:135]
	v_add_f64 v[142:143], v[142:143], v[148:149]
	v_add_f64 v[28:29], v[28:29], v[142:143]
	v_fma_f64 v[142:143], v[56:57], s[10:11], -v[144:145]
	v_fma_f64 v[140:141], v[62:63], s[30:31], -v[140:141]
	v_add_f64 v[142:143], v[2:3], v[142:143]
	v_fma_f64 v[136:137], v[90:91], s[14:15], -v[136:137]
	v_add_f64 v[140:141], v[140:141], v[142:143]
	;; [unrolled: 2-line block ×5, first 2 shown]
	v_fmac_f64_e32 v[158:159], s[10:11], v[112:113]
	v_add_f64 v[130:131], v[128:129], v[130:131]
	v_fmac_f64_e32 v[154:155], s[30:31], v[110:111]
	v_add_f64 v[128:129], v[0:1], v[158:159]
	v_mul_f64 v[152:153], v[114:115], s[36:37]
	v_fmac_f64_e32 v[150:151], s[14:15], v[108:109]
	v_add_f64 v[128:129], v[154:155], v[128:129]
	v_mul_f64 v[148:149], v[102:103], s[18:19]
	v_fma_f64 v[154:155], s[16:17], v[56:57], v[152:153]
	v_mul_f64 v[166:167], v[126:127], s[36:37]
	v_fmac_f64_e32 v[146:147], s[22:23], v[106:107]
	v_add_f64 v[128:129], v[150:151], v[128:129]
	v_mul_f64 v[144:145], v[100:101], s[34:35]
	v_fma_f64 v[150:151], s[14:15], v[62:63], v[148:149]
	v_add_f64 v[154:155], v[2:3], v[154:155]
	v_mul_f64 v[162:163], v[124:125], s[18:19]
	v_fma_f64 v[170:171], v[112:113], s[16:17], -v[166:167]
	v_fmac_f64_e32 v[138:139], s[16:17], v[104:105]
	v_add_f64 v[128:129], v[146:147], v[128:129]
	v_mul_f64 v[140:141], v[98:99], s[42:43]
	v_fma_f64 v[146:147], s[30:31], v[90:91], v[144:145]
	v_add_f64 v[150:151], v[150:151], v[154:155]
	v_mul_f64 v[158:159], v[122:123], s[34:35]
	v_fma_f64 v[164:165], v[110:111], s[14:15], -v[162:163]
	v_add_f64 v[170:171], v[0:1], v[170:171]
	v_fmac_f64_e32 v[134:135], s[20:21], v[58:59]
	v_add_f64 v[128:129], v[138:139], v[128:129]
	v_mul_f64 v[138:139], v[88:89], s[26:27]
	v_fma_f64 v[142:143], s[20:21], v[86:87], v[140:141]
	v_add_f64 v[146:147], v[146:147], v[150:151]
	v_mul_f64 v[154:155], v[120:121], s[42:43]
	v_fma_f64 v[160:161], v[108:109], s[30:31], -v[158:159]
	v_add_f64 v[164:165], v[164:165], v[170:171]
	v_add_f64 v[128:129], v[134:135], v[128:129]
	v_mul_f64 v[136:137], v[96:97], s[28:29]
	v_fma_f64 v[134:135], s[10:11], v[82:83], v[138:139]
	v_add_f64 v[142:143], v[142:143], v[146:147]
	v_mul_f64 v[146:147], v[118:119], s[26:27]
	v_fma_f64 v[156:157], v[106:107], s[20:21], -v[154:155]
	v_add_f64 v[160:161], v[160:161], v[164:165]
	v_fma_f64 v[132:133], s[22:23], v[78:79], v[136:137]
	v_add_f64 v[134:135], v[134:135], v[142:143]
	v_mul_f64 v[142:143], v[116:117], s[28:29]
	v_fma_f64 v[150:151], v[104:105], s[10:11], -v[146:147]
	v_add_f64 v[156:157], v[156:157], v[160:161]
	v_add_f64 v[134:135], v[132:133], v[134:135]
	v_fma_f64 v[132:133], v[58:59], s[22:23], -v[142:143]
	v_add_f64 v[150:151], v[150:151], v[156:157]
	v_add_f64 v[132:133], v[132:133], v[150:151]
	v_fma_f64 v[150:151], v[56:57], s[16:17], -v[152:153]
	v_fma_f64 v[148:149], v[62:63], s[14:15], -v[148:149]
	v_add_f64 v[150:151], v[2:3], v[150:151]
	v_fma_f64 v[144:145], v[90:91], s[30:31], -v[144:145]
	v_add_f64 v[148:149], v[148:149], v[150:151]
	;; [unrolled: 2-line block ×5, first 2 shown]
	v_fmac_f64_e32 v[166:167], s[16:17], v[112:113]
	v_add_f64 v[138:139], v[136:137], v[138:139]
	v_fmac_f64_e32 v[162:163], s[14:15], v[110:111]
	v_add_f64 v[136:137], v[0:1], v[166:167]
	;; [unrolled: 2-line block ×3, first 2 shown]
	s_mov_b32 s29, 0xbfddbe06
	v_fmac_f64_e32 v[154:155], s[20:21], v[106:107]
	v_add_f64 v[136:137], v[158:159], v[136:137]
	v_mul_f64 v[114:115], v[114:115], s[28:29]
	v_fmac_f64_e32 v[146:147], s[10:11], v[104:105]
	v_add_f64 v[136:137], v[154:155], v[136:137]
	v_mul_f64 v[102:103], v[102:103], s[36:37]
	v_fma_f64 v[150:151], s[22:23], v[56:57], v[114:115]
	v_fma_f64 v[56:57], v[56:57], s[22:23], -v[114:115]
	v_fmac_f64_e32 v[142:143], s[22:23], v[58:59]
	v_add_f64 v[136:137], v[146:147], v[136:137]
	v_mul_f64 v[88:89], v[88:89], s[24:25]
	v_mul_f64 v[100:101], v[100:101], s[40:41]
	v_fma_f64 v[148:149], s[16:17], v[62:63], v[102:103]
	v_fma_f64 v[62:63], v[62:63], s[16:17], -v[102:103]
	v_add_f64 v[56:57], v[2:3], v[56:57]
	v_add_f64 v[136:137], v[142:143], v[136:137]
	v_fma_f64 v[142:143], s[20:21], v[82:83], v[88:89]
	v_mul_f64 v[144:145], v[98:99], s[18:19]
	v_fma_f64 v[82:83], v[82:83], s[20:21], -v[88:89]
	v_fma_f64 v[88:89], v[90:91], s[10:11], -v[100:101]
	v_add_f64 v[56:57], v[62:63], v[56:57]
	v_fma_f64 v[98:99], s[14:15], v[86:87], v[144:145]
	v_fma_f64 v[86:87], v[86:87], s[14:15], -v[144:145]
	v_add_f64 v[56:57], v[88:89], v[56:57]
	v_mul_f64 v[140:141], v[96:97], s[34:35]
	v_mul_f64 v[126:127], v[126:127], s[28:29]
	v_add_f64 v[56:57], v[86:87], v[56:57]
	v_fma_f64 v[96:97], s[30:31], v[78:79], v[140:141]
	v_fma_f64 v[152:153], v[112:113], s[22:23], -v[126:127]
	v_fma_f64 v[78:79], v[78:79], s[30:31], -v[140:141]
	v_add_f64 v[56:57], v[82:83], v[56:57]
	v_fmac_f64_e32 v[126:127], s[22:23], v[112:113]
	v_add_f64 v[150:151], v[2:3], v[150:151]
	v_add_f64 v[152:153], v[0:1], v[152:153]
	v_add_f64 v[88:89], v[78:79], v[56:57]
	v_add_f64 v[56:57], v[0:1], v[126:127]
	v_add_f64 v[2:3], v[2:3], v[34:35]
	v_add_f64 v[0:1], v[0:1], v[60:61]
	v_add_f64 v[2:3], v[2:3], v[74:75]
	v_add_f64 v[0:1], v[0:1], v[72:73]
	v_add_f64 v[2:3], v[2:3], v[84:85]
	v_add_f64 v[0:1], v[0:1], v[68:69]
	v_add_f64 v[2:3], v[2:3], v[70:71]
	v_add_f64 v[0:1], v[0:1], v[38:39]
	v_add_f64 v[2:3], v[2:3], v[66:67]
	v_add_f64 v[0:1], v[0:1], v[40:41]
	v_add_f64 v[2:3], v[2:3], v[80:81]
	v_add_f64 v[0:1], v[0:1], v[92:93]
	v_mul_f64 v[124:125], v[124:125], s[36:37]
	v_add_f64 v[2:3], v[2:3], v[76:77]
	v_add_f64 v[0:1], v[0:1], v[94:95]
	v_fma_f64 v[146:147], s[10:11], v[90:91], v[100:101]
	v_add_f64 v[148:149], v[148:149], v[150:151]
	v_mul_f64 v[122:123], v[122:123], s[40:41]
	v_fma_f64 v[150:151], v[110:111], s[16:17], -v[124:125]
	v_fmac_f64_e32 v[124:125], s[16:17], v[110:111]
	v_add_f64 v[2:3], v[2:3], v[64:65]
	v_add_f64 v[0:1], v[0:1], v[42:43]
	v_add_f64 v[146:147], v[146:147], v[148:149]
	v_mul_f64 v[120:121], v[120:121], s[18:19]
	v_fma_f64 v[148:149], v[108:109], s[10:11], -v[122:123]
	v_add_f64 v[150:151], v[150:151], v[152:153]
	v_fmac_f64_e32 v[122:123], s[10:11], v[108:109]
	v_add_f64 v[56:57], v[124:125], v[56:57]
	v_add_f64 v[2:3], v[2:3], v[54:55]
	v_add_f64 v[0:1], v[0:1], v[36:37]
	v_add_f64 v[98:99], v[98:99], v[146:147]
	v_mul_f64 v[118:119], v[118:119], s[24:25]
	v_fma_f64 v[146:147], v[106:107], s[14:15], -v[120:121]
	v_add_f64 v[148:149], v[148:149], v[150:151]
	v_fmac_f64_e32 v[120:121], s[14:15], v[106:107]
	v_add_f64 v[56:57], v[122:123], v[56:57]
	;; [unrolled: 8-line block ×3, first 2 shown]
	v_add_f64 v[2:3], v[2:3], v[46:47]
	v_add_f64 v[0:1], v[0:1], v[48:49]
	;; [unrolled: 1-line block ×3, first 2 shown]
	v_fma_f64 v[96:97], v[58:59], s[30:31], -v[116:117]
	v_add_f64 v[142:143], v[142:143], v[146:147]
	v_fmac_f64_e32 v[116:117], s[30:31], v[58:59]
	v_add_f64 v[56:57], v[118:119], v[56:57]
	v_add_f64 v[2:3], v[2:3], v[32:33]
	;; [unrolled: 1-line block ×5, first 2 shown]
	ds_write_b128 v168, v[0:3]
	ds_write_b128 v168, v[86:89] offset:2288
	ds_write_b128 v168, v[136:139] offset:4576
	;; [unrolled: 1-line block ×12, first 2 shown]
.LBB0_21:
	s_or_b64 exec, exec, s[0:1]
	s_waitcnt lgkmcnt(0)
	s_barrier
	s_and_b64 exec, exec, s[2:3]
	s_cbranch_execz .LBB0_23
; %bb.22:
	v_mov_b32_e32 v55, v169
	v_mov_b32_e32 v169, 0
	global_load_dwordx4 v[0:3], v168, s[12:13]
	global_load_dwordx4 v[4:7], v168, s[12:13] offset:2288
	s_movk_i32 s0, 0x1000
	v_lshl_add_u64 v[36:37], s[12:13], 0, v[168:169]
	v_add_co_u32_e32 v16, vcc, s0, v36
	v_mad_u64_u32 v[42:43], s[2:3], s4, v55, 0
	s_nop 0
	v_addc_co_u32_e32 v17, vcc, 0, v37, vcc
	global_load_dwordx4 v[8:11], v[16:17], off offset:480
	global_load_dwordx4 v[12:15], v[16:17], off offset:2768
	s_movk_i32 s3, 0x2000
	v_add_co_u32_e32 v44, vcc, s3, v36
	ds_read_b128 v[20:23], v168
	ds_read_b128 v[16:19], v168 offset:2288
	v_addc_co_u32_e32 v45, vcc, 0, v37, vcc
	global_load_dwordx4 v[24:27], v[44:45], off offset:960
	ds_read_b128 v[32:35], v168 offset:4576
	ds_read_b128 v[28:31], v168 offset:6864
	global_load_dwordx4 v[50:53], v[44:45], off offset:3248
	v_accvgpr_read_b32 v58, a0
	s_movk_i32 s3, 0x3000
	v_mad_u64_u32 v[40:41], s[0:1], s6, v58, 0
	v_add_co_u32_e32 v70, vcc, s3, v36
	v_mov_b32_e32 v54, v41
	v_mov_b32_e32 v56, v43
	v_addc_co_u32_e32 v71, vcc, 0, v37, vcc
	v_mad_u64_u32 v[44:45], s[6:7], s7, v58, v[54:55]
	v_mad_u64_u32 v[58:59], s[6:7], s5, v55, v[56:57]
	global_load_dwordx4 v[54:57], v[70:71], off offset:1440
	v_mov_b32_e32 v38, s8
	s_movk_i32 s8, 0x4000
	v_add_co_u32_e32 v72, vcc, s8, v36
	v_mov_b32_e32 v39, s9
	s_movk_i32 s9, 0x5000
	v_addc_co_u32_e32 v73, vcc, 0, v37, vcc
	v_add_co_u32_e32 v74, vcc, s9, v36
	ds_read_b128 v[46:49], v168 offset:27456
	s_nop 0
	v_addc_co_u32_e32 v75, vcc, 0, v37, vcc
	v_mov_b32_e32 v43, v58
	global_load_dwordx4 v[58:61], v[70:71], off offset:3728
	global_load_dwordx4 v[62:65], v[72:73], off offset:1920
	;; [unrolled: 1-line block ×3, first 2 shown]
	v_mov_b32_e32 v41, v44
	v_lshl_add_u64 v[38:39], v[40:41], 4, v[38:39]
	s_mov_b32 s0, 0x2ab08acf
	v_lshl_add_u64 v[38:39], v[42:43], 4, v[38:39]
	s_mov_b32 s1, 0x3f41a06e
	v_mov_b32_e32 v76, 0x8f0
	s_mul_i32 s2, s5, 0x8f0
	v_mad_u64_u32 v[40:41], s[6:7], s4, v76, v[38:39]
	v_add_u32_e32 v41, s2, v41
	s_movk_i32 s3, 0x6000
	s_waitcnt vmcnt(9) lgkmcnt(4)
	v_mul_f64 v[42:43], v[22:23], v[2:3]
	v_mul_f64 v[2:3], v[20:21], v[2:3]
	s_waitcnt vmcnt(8) lgkmcnt(3)
	v_mul_f64 v[44:45], v[18:19], v[6:7]
	v_mul_f64 v[6:7], v[16:17], v[6:7]
	v_fmac_f64_e32 v[42:43], v[20:21], v[0:1]
	v_fma_f64 v[2:3], v[0:1], v[22:23], -v[2:3]
	v_fmac_f64_e32 v[44:45], v[16:17], v[4:5]
	v_fma_f64 v[6:7], v[4:5], v[18:19], -v[6:7]
	v_mul_f64 v[0:1], v[42:43], s[0:1]
	v_mul_f64 v[2:3], v[2:3], s[0:1]
	;; [unrolled: 1-line block ×4, first 2 shown]
	global_store_dwordx4 v[38:39], v[0:3], off
	global_store_dwordx4 v[40:41], v[4:7], off
	global_load_dwordx4 v[4:7], v[74:75], off offset:2400
	s_waitcnt vmcnt(10) lgkmcnt(2)
	v_mul_f64 v[0:1], v[34:35], v[10:11]
	v_mul_f64 v[2:3], v[32:33], v[10:11]
	v_fmac_f64_e32 v[0:1], v[32:33], v[8:9]
	v_fma_f64 v[2:3], v[8:9], v[34:35], -v[2:3]
	v_mad_u64_u32 v[8:9], s[6:7], s4, v76, v[40:41]
	v_mul_f64 v[0:1], v[0:1], s[0:1]
	v_mul_f64 v[2:3], v[2:3], s[0:1]
	v_add_u32_e32 v9, s2, v9
	v_add_co_u32_e32 v22, vcc, s3, v36
	global_store_dwordx4 v[8:9], v[0:3], off
	s_nop 0
	v_addc_co_u32_e32 v23, vcc, 0, v37, vcc
	s_waitcnt vmcnt(10) lgkmcnt(1)
	v_mul_f64 v[0:1], v[30:31], v[14:15]
	v_mul_f64 v[2:3], v[28:29], v[14:15]
	v_fmac_f64_e32 v[0:1], v[28:29], v[12:13]
	v_fma_f64 v[2:3], v[12:13], v[30:31], -v[2:3]
	global_load_dwordx4 v[12:15], v[22:23], off offset:592
	v_mad_u64_u32 v[20:21], s[6:7], s4, v76, v[8:9]
	ds_read_b128 v[8:11], v168 offset:9152
	v_mul_f64 v[0:1], v[0:1], s[0:1]
	v_mul_f64 v[2:3], v[2:3], s[0:1]
	v_add_u32_e32 v21, s2, v21
	global_store_dwordx4 v[20:21], v[0:3], off
	ds_read_b128 v[0:3], v168 offset:11440
	s_waitcnt vmcnt(11) lgkmcnt(1)
	v_mul_f64 v[16:17], v[10:11], v[26:27]
	v_fmac_f64_e32 v[16:17], v[8:9], v[24:25]
	v_mul_f64 v[8:9], v[8:9], v[26:27]
	v_fma_f64 v[8:9], v[24:25], v[10:11], -v[8:9]
	v_mul_f64 v[18:19], v[8:9], s[0:1]
	s_waitcnt vmcnt(10) lgkmcnt(0)
	v_mul_f64 v[8:9], v[2:3], v[52:53]
	v_fmac_f64_e32 v[8:9], v[0:1], v[50:51]
	v_mul_f64 v[0:1], v[0:1], v[52:53]
	v_mad_u64_u32 v[20:21], s[6:7], s4, v76, v[20:21]
	v_fma_f64 v[0:1], v[50:51], v[2:3], -v[0:1]
	v_mul_f64 v[16:17], v[16:17], s[0:1]
	v_add_u32_e32 v21, s2, v21
	v_mul_f64 v[10:11], v[0:1], s[0:1]
	ds_read_b128 v[0:3], v168 offset:13728
	global_store_dwordx4 v[20:21], v[16:19], off
	v_mad_u64_u32 v[20:21], s[6:7], s4, v76, v[20:21]
	v_mul_f64 v[8:9], v[8:9], s[0:1]
	v_add_u32_e32 v21, s2, v21
	global_store_dwordx4 v[20:21], v[8:11], off
	ds_read_b128 v[8:11], v168 offset:16016
	s_waitcnt vmcnt(11) lgkmcnt(1)
	v_mul_f64 v[16:17], v[2:3], v[56:57]
	v_fmac_f64_e32 v[16:17], v[0:1], v[54:55]
	v_mul_f64 v[0:1], v[0:1], v[56:57]
	v_fma_f64 v[0:1], v[54:55], v[2:3], -v[0:1]
	v_mul_f64 v[18:19], v[0:1], s[0:1]
	v_mad_u64_u32 v[20:21], s[6:7], s4, v76, v[20:21]
	s_waitcnt vmcnt(10) lgkmcnt(0)
	v_mul_f64 v[0:1], v[10:11], v[60:61]
	v_mul_f64 v[2:3], v[8:9], v[60:61]
	;; [unrolled: 1-line block ×3, first 2 shown]
	v_add_u32_e32 v21, s2, v21
	v_fmac_f64_e32 v[0:1], v[8:9], v[58:59]
	v_fma_f64 v[2:3], v[58:59], v[10:11], -v[2:3]
	ds_read_b128 v[8:11], v168 offset:18304
	global_store_dwordx4 v[20:21], v[16:19], off
	v_mad_u64_u32 v[20:21], s[6:7], s4, v76, v[20:21]
	v_mul_f64 v[0:1], v[0:1], s[0:1]
	v_mul_f64 v[2:3], v[2:3], s[0:1]
	v_add_u32_e32 v21, s2, v21
	global_store_dwordx4 v[20:21], v[0:3], off
	ds_read_b128 v[0:3], v168 offset:20592
	s_waitcnt vmcnt(11) lgkmcnt(1)
	v_mul_f64 v[16:17], v[10:11], v[64:65]
	v_fmac_f64_e32 v[16:17], v[8:9], v[62:63]
	v_mul_f64 v[8:9], v[8:9], v[64:65]
	v_fma_f64 v[8:9], v[62:63], v[10:11], -v[8:9]
	v_mul_f64 v[18:19], v[8:9], s[0:1]
	s_waitcnt vmcnt(10) lgkmcnt(0)
	v_mul_f64 v[8:9], v[2:3], v[68:69]
	v_fmac_f64_e32 v[8:9], v[0:1], v[66:67]
	v_mul_f64 v[0:1], v[0:1], v[68:69]
	v_mad_u64_u32 v[20:21], s[6:7], s4, v76, v[20:21]
	v_fma_f64 v[0:1], v[66:67], v[2:3], -v[0:1]
	v_mul_f64 v[16:17], v[16:17], s[0:1]
	v_add_u32_e32 v21, s2, v21
	v_mul_f64 v[10:11], v[0:1], s[0:1]
	ds_read_b128 v[0:3], v168 offset:22880
	global_store_dwordx4 v[20:21], v[16:19], off
	v_mad_u64_u32 v[20:21], s[6:7], s4, v76, v[20:21]
	v_mul_f64 v[8:9], v[8:9], s[0:1]
	v_add_u32_e32 v21, s2, v21
	global_store_dwordx4 v[20:21], v[8:11], off
	ds_read_b128 v[8:11], v168 offset:25168
	s_waitcnt vmcnt(9) lgkmcnt(1)
	v_mul_f64 v[16:17], v[2:3], v[6:7]
	v_fmac_f64_e32 v[16:17], v[0:1], v[4:5]
	v_mul_f64 v[0:1], v[0:1], v[6:7]
	v_fma_f64 v[0:1], v[4:5], v[2:3], -v[0:1]
	v_mad_u64_u32 v[4:5], s[6:7], s4, v76, v[20:21]
	v_mul_f64 v[18:19], v[0:1], s[0:1]
	v_add_u32_e32 v5, s2, v5
	s_waitcnt vmcnt(7) lgkmcnt(0)
	v_mul_f64 v[0:1], v[10:11], v[14:15]
	v_mul_f64 v[2:3], v[8:9], v[14:15]
	v_fmac_f64_e32 v[0:1], v[8:9], v[12:13]
	v_fma_f64 v[2:3], v[12:13], v[10:11], -v[2:3]
	v_mad_u64_u32 v[8:9], s[6:7], s4, v76, v[4:5]
	v_mul_f64 v[16:17], v[16:17], s[0:1]
	v_mul_f64 v[0:1], v[0:1], s[0:1]
	;; [unrolled: 1-line block ×3, first 2 shown]
	v_add_u32_e32 v9, s2, v9
	global_store_dwordx4 v[4:5], v[16:19], off
	global_store_dwordx4 v[8:9], v[0:3], off
	global_load_dwordx4 v[0:3], v[22:23], off offset:2880
	s_waitcnt vmcnt(0)
	v_mul_f64 v[4:5], v[48:49], v[2:3]
	v_mul_f64 v[2:3], v[46:47], v[2:3]
	v_fmac_f64_e32 v[4:5], v[46:47], v[0:1]
	v_fma_f64 v[0:1], v[0:1], v[48:49], -v[2:3]
	v_mul_f64 v[4:5], v[4:5], s[0:1]
	v_mul_f64 v[6:7], v[0:1], s[0:1]
	v_mad_u64_u32 v[0:1], s[0:1], s4, v76, v[8:9]
	v_add_u32_e32 v1, s2, v1
	global_store_dwordx4 v[0:1], v[4:7], off
.LBB0_23:
	s_endpgm
	.section	.rodata,"a",@progbits
	.p2align	6, 0x0
	.amdhsa_kernel bluestein_single_fwd_len1859_dim1_dp_op_CI_CI
		.amdhsa_group_segment_fixed_size 29744
		.amdhsa_private_segment_fixed_size 0
		.amdhsa_kernarg_size 104
		.amdhsa_user_sgpr_count 2
		.amdhsa_user_sgpr_dispatch_ptr 0
		.amdhsa_user_sgpr_queue_ptr 0
		.amdhsa_user_sgpr_kernarg_segment_ptr 1
		.amdhsa_user_sgpr_dispatch_id 0
		.amdhsa_user_sgpr_kernarg_preload_length 0
		.amdhsa_user_sgpr_kernarg_preload_offset 0
		.amdhsa_user_sgpr_private_segment_size 0
		.amdhsa_uses_dynamic_stack 0
		.amdhsa_enable_private_segment 0
		.amdhsa_system_sgpr_workgroup_id_x 1
		.amdhsa_system_sgpr_workgroup_id_y 0
		.amdhsa_system_sgpr_workgroup_id_z 0
		.amdhsa_system_sgpr_workgroup_info 0
		.amdhsa_system_vgpr_workitem_id 0
		.amdhsa_next_free_vgpr 340
		.amdhsa_next_free_sgpr 50
		.amdhsa_accum_offset 256
		.amdhsa_reserve_vcc 1
		.amdhsa_float_round_mode_32 0
		.amdhsa_float_round_mode_16_64 0
		.amdhsa_float_denorm_mode_32 3
		.amdhsa_float_denorm_mode_16_64 3
		.amdhsa_dx10_clamp 1
		.amdhsa_ieee_mode 1
		.amdhsa_fp16_overflow 0
		.amdhsa_tg_split 0
		.amdhsa_exception_fp_ieee_invalid_op 0
		.amdhsa_exception_fp_denorm_src 0
		.amdhsa_exception_fp_ieee_div_zero 0
		.amdhsa_exception_fp_ieee_overflow 0
		.amdhsa_exception_fp_ieee_underflow 0
		.amdhsa_exception_fp_ieee_inexact 0
		.amdhsa_exception_int_div_zero 0
	.end_amdhsa_kernel
	.text
.Lfunc_end0:
	.size	bluestein_single_fwd_len1859_dim1_dp_op_CI_CI, .Lfunc_end0-bluestein_single_fwd_len1859_dim1_dp_op_CI_CI
                                        ; -- End function
	.section	.AMDGPU.csdata,"",@progbits
; Kernel info:
; codeLenInByte = 26644
; NumSgprs: 56
; NumVgprs: 256
; NumAgprs: 84
; TotalNumVgprs: 340
; ScratchSize: 0
; MemoryBound: 0
; FloatMode: 240
; IeeeMode: 1
; LDSByteSize: 29744 bytes/workgroup (compile time only)
; SGPRBlocks: 6
; VGPRBlocks: 42
; NumSGPRsForWavesPerEU: 56
; NumVGPRsForWavesPerEU: 340
; AccumOffset: 256
; Occupancy: 1
; WaveLimiterHint : 1
; COMPUTE_PGM_RSRC2:SCRATCH_EN: 0
; COMPUTE_PGM_RSRC2:USER_SGPR: 2
; COMPUTE_PGM_RSRC2:TRAP_HANDLER: 0
; COMPUTE_PGM_RSRC2:TGID_X_EN: 1
; COMPUTE_PGM_RSRC2:TGID_Y_EN: 0
; COMPUTE_PGM_RSRC2:TGID_Z_EN: 0
; COMPUTE_PGM_RSRC2:TIDIG_COMP_CNT: 0
; COMPUTE_PGM_RSRC3_GFX90A:ACCUM_OFFSET: 63
; COMPUTE_PGM_RSRC3_GFX90A:TG_SPLIT: 0
	.text
	.p2alignl 6, 3212836864
	.fill 256, 4, 3212836864
	.type	__hip_cuid_a5e10e3ee8976766,@object ; @__hip_cuid_a5e10e3ee8976766
	.section	.bss,"aw",@nobits
	.globl	__hip_cuid_a5e10e3ee8976766
__hip_cuid_a5e10e3ee8976766:
	.byte	0                               ; 0x0
	.size	__hip_cuid_a5e10e3ee8976766, 1

	.ident	"AMD clang version 19.0.0git (https://github.com/RadeonOpenCompute/llvm-project roc-6.4.0 25133 c7fe45cf4b819c5991fe208aaa96edf142730f1d)"
	.section	".note.GNU-stack","",@progbits
	.addrsig
	.addrsig_sym __hip_cuid_a5e10e3ee8976766
	.amdgpu_metadata
---
amdhsa.kernels:
  - .agpr_count:     84
    .args:
      - .actual_access:  read_only
        .address_space:  global
        .offset:         0
        .size:           8
        .value_kind:     global_buffer
      - .actual_access:  read_only
        .address_space:  global
        .offset:         8
        .size:           8
        .value_kind:     global_buffer
      - .actual_access:  read_only
        .address_space:  global
        .offset:         16
        .size:           8
        .value_kind:     global_buffer
      - .actual_access:  read_only
        .address_space:  global
        .offset:         24
        .size:           8
        .value_kind:     global_buffer
      - .actual_access:  read_only
        .address_space:  global
        .offset:         32
        .size:           8
        .value_kind:     global_buffer
      - .offset:         40
        .size:           8
        .value_kind:     by_value
      - .address_space:  global
        .offset:         48
        .size:           8
        .value_kind:     global_buffer
      - .address_space:  global
        .offset:         56
        .size:           8
        .value_kind:     global_buffer
      - .address_space:  global
        .offset:         64
        .size:           8
        .value_kind:     global_buffer
      - .address_space:  global
        .offset:         72
        .size:           8
        .value_kind:     global_buffer
      - .offset:         80
        .size:           4
        .value_kind:     by_value
      - .address_space:  global
        .offset:         88
        .size:           8
        .value_kind:     global_buffer
      - .address_space:  global
        .offset:         96
        .size:           8
        .value_kind:     global_buffer
    .group_segment_fixed_size: 29744
    .kernarg_segment_align: 8
    .kernarg_segment_size: 104
    .language:       OpenCL C
    .language_version:
      - 2
      - 0
    .max_flat_workgroup_size: 169
    .name:           bluestein_single_fwd_len1859_dim1_dp_op_CI_CI
    .private_segment_fixed_size: 0
    .sgpr_count:     56
    .sgpr_spill_count: 0
    .symbol:         bluestein_single_fwd_len1859_dim1_dp_op_CI_CI.kd
    .uniform_work_group_size: 1
    .uses_dynamic_stack: false
    .vgpr_count:     340
    .vgpr_spill_count: 0
    .wavefront_size: 64
amdhsa.target:   amdgcn-amd-amdhsa--gfx950
amdhsa.version:
  - 1
  - 2
...

	.end_amdgpu_metadata
